;; amdgpu-corpus repo=ROCm/rocFFT kind=compiled arch=gfx950 opt=O3
	.text
	.amdgcn_target "amdgcn-amd-amdhsa--gfx950"
	.amdhsa_code_object_version 6
	.protected	fft_rtc_back_len2040_factors_17_4_3_10_wgs_170_tpt_170_halfLds_dp_ip_CI_unitstride_sbrr_dirReg ; -- Begin function fft_rtc_back_len2040_factors_17_4_3_10_wgs_170_tpt_170_halfLds_dp_ip_CI_unitstride_sbrr_dirReg
	.globl	fft_rtc_back_len2040_factors_17_4_3_10_wgs_170_tpt_170_halfLds_dp_ip_CI_unitstride_sbrr_dirReg
	.p2align	8
	.type	fft_rtc_back_len2040_factors_17_4_3_10_wgs_170_tpt_170_halfLds_dp_ip_CI_unitstride_sbrr_dirReg,@function
fft_rtc_back_len2040_factors_17_4_3_10_wgs_170_tpt_170_halfLds_dp_ip_CI_unitstride_sbrr_dirReg: ; @fft_rtc_back_len2040_factors_17_4_3_10_wgs_170_tpt_170_halfLds_dp_ip_CI_unitstride_sbrr_dirReg
; %bb.0:
	s_load_dwordx2 s[8:9], s[0:1], 0x50
	s_load_dwordx4 s[4:7], s[0:1], 0x0
	s_load_dwordx2 s[10:11], s[0:1], 0x18
	v_mul_u32_u24_e32 v1, 0x182, v0
	v_add_u32_sdwa v6, s2, v1 dst_sel:DWORD dst_unused:UNUSED_PAD src0_sel:DWORD src1_sel:WORD_1
	v_mov_b32_e32 v4, 0
	s_waitcnt lgkmcnt(0)
	v_cmp_lt_u64_e64 s[2:3], s[6:7], 2
	v_mov_b32_e32 v7, v4
	s_and_b64 vcc, exec, s[2:3]
	v_mov_b64_e32 v[2:3], 0
	s_cbranch_vccnz .LBB0_8
; %bb.1:
	s_load_dwordx2 s[2:3], s[0:1], 0x10
	s_add_u32 s12, s10, 8
	s_addc_u32 s13, s11, 0
	s_mov_b64 s[14:15], 1
	v_mov_b64_e32 v[2:3], 0
	s_waitcnt lgkmcnt(0)
	s_add_u32 s16, s2, 8
	s_addc_u32 s17, s3, 0
.LBB0_2:                                ; =>This Inner Loop Header: Depth=1
	s_load_dwordx2 s[18:19], s[16:17], 0x0
                                        ; implicit-def: $vgpr8_vgpr9
	s_waitcnt lgkmcnt(0)
	v_or_b32_e32 v5, s19, v7
	v_cmp_ne_u64_e32 vcc, 0, v[4:5]
	s_and_saveexec_b64 s[2:3], vcc
	s_xor_b64 s[20:21], exec, s[2:3]
	s_cbranch_execz .LBB0_4
; %bb.3:                                ;   in Loop: Header=BB0_2 Depth=1
	v_cvt_f32_u32_e32 v1, s18
	v_cvt_f32_u32_e32 v5, s19
	s_sub_u32 s2, 0, s18
	s_subb_u32 s3, 0, s19
	v_fmac_f32_e32 v1, 0x4f800000, v5
	v_rcp_f32_e32 v1, v1
	s_nop 0
	v_mul_f32_e32 v1, 0x5f7ffffc, v1
	v_mul_f32_e32 v5, 0x2f800000, v1
	v_trunc_f32_e32 v5, v5
	v_fmac_f32_e32 v1, 0xcf800000, v5
	v_cvt_u32_f32_e32 v5, v5
	v_cvt_u32_f32_e32 v1, v1
	v_mul_lo_u32 v8, s2, v5
	v_mul_hi_u32 v10, s2, v1
	v_mul_lo_u32 v9, s3, v1
	v_add_u32_e32 v10, v10, v8
	v_mul_lo_u32 v12, s2, v1
	v_add_u32_e32 v13, v10, v9
	v_mul_hi_u32 v8, v1, v12
	v_mul_hi_u32 v11, v1, v13
	v_mul_lo_u32 v10, v1, v13
	v_mov_b32_e32 v9, v4
	v_lshl_add_u64 v[8:9], v[8:9], 0, v[10:11]
	v_mul_hi_u32 v11, v5, v12
	v_mul_lo_u32 v12, v5, v12
	v_add_co_u32_e32 v8, vcc, v8, v12
	v_mul_hi_u32 v10, v5, v13
	s_nop 0
	v_addc_co_u32_e32 v8, vcc, v9, v11, vcc
	v_mov_b32_e32 v9, v4
	s_nop 0
	v_addc_co_u32_e32 v11, vcc, 0, v10, vcc
	v_mul_lo_u32 v10, v5, v13
	v_lshl_add_u64 v[8:9], v[8:9], 0, v[10:11]
	v_add_co_u32_e32 v1, vcc, v1, v8
	v_mul_lo_u32 v10, s2, v1
	s_nop 0
	v_addc_co_u32_e32 v5, vcc, v5, v9, vcc
	v_mul_lo_u32 v8, s2, v5
	v_mul_hi_u32 v9, s2, v1
	v_add_u32_e32 v8, v9, v8
	v_mul_lo_u32 v9, s3, v1
	v_add_u32_e32 v12, v8, v9
	v_mul_hi_u32 v14, v5, v10
	v_mul_lo_u32 v15, v5, v10
	v_mul_hi_u32 v9, v1, v12
	v_mul_lo_u32 v8, v1, v12
	v_mul_hi_u32 v10, v1, v10
	v_mov_b32_e32 v11, v4
	v_lshl_add_u64 v[8:9], v[10:11], 0, v[8:9]
	v_add_co_u32_e32 v8, vcc, v8, v15
	v_mul_hi_u32 v13, v5, v12
	s_nop 0
	v_addc_co_u32_e32 v8, vcc, v9, v14, vcc
	v_mul_lo_u32 v10, v5, v12
	s_nop 0
	v_addc_co_u32_e32 v11, vcc, 0, v13, vcc
	v_mov_b32_e32 v9, v4
	v_lshl_add_u64 v[8:9], v[8:9], 0, v[10:11]
	v_add_co_u32_e32 v1, vcc, v1, v8
	v_mul_hi_u32 v10, v6, v1
	s_nop 0
	v_addc_co_u32_e32 v5, vcc, v5, v9, vcc
	v_mad_u64_u32 v[8:9], s[2:3], v6, v5, 0
	v_mov_b32_e32 v11, v4
	v_lshl_add_u64 v[8:9], v[10:11], 0, v[8:9]
	v_mad_u64_u32 v[12:13], s[2:3], v7, v1, 0
	v_add_co_u32_e32 v1, vcc, v8, v12
	v_mad_u64_u32 v[10:11], s[2:3], v7, v5, 0
	s_nop 0
	v_addc_co_u32_e32 v8, vcc, v9, v13, vcc
	v_mov_b32_e32 v9, v4
	s_nop 0
	v_addc_co_u32_e32 v11, vcc, 0, v11, vcc
	v_lshl_add_u64 v[8:9], v[8:9], 0, v[10:11]
	v_mul_lo_u32 v1, s19, v8
	v_mul_lo_u32 v5, s18, v9
	v_mad_u64_u32 v[10:11], s[2:3], s18, v8, 0
	v_add3_u32 v1, v11, v5, v1
	v_sub_u32_e32 v5, v7, v1
	v_mov_b32_e32 v11, s19
	v_sub_co_u32_e32 v14, vcc, v6, v10
	v_lshl_add_u64 v[12:13], v[8:9], 0, 1
	s_nop 0
	v_subb_co_u32_e64 v5, s[2:3], v5, v11, vcc
	v_subrev_co_u32_e64 v10, s[2:3], s18, v14
	v_subb_co_u32_e32 v1, vcc, v7, v1, vcc
	s_nop 0
	v_subbrev_co_u32_e64 v5, s[2:3], 0, v5, s[2:3]
	v_cmp_le_u32_e64 s[2:3], s19, v5
	v_cmp_le_u32_e32 vcc, s19, v1
	s_nop 0
	v_cndmask_b32_e64 v11, 0, -1, s[2:3]
	v_cmp_le_u32_e64 s[2:3], s18, v10
	s_nop 1
	v_cndmask_b32_e64 v10, 0, -1, s[2:3]
	v_cmp_eq_u32_e64 s[2:3], s19, v5
	s_nop 1
	v_cndmask_b32_e64 v5, v11, v10, s[2:3]
	v_lshl_add_u64 v[10:11], v[8:9], 0, 2
	v_cmp_ne_u32_e64 s[2:3], 0, v5
	s_nop 1
	v_cndmask_b32_e64 v5, v13, v11, s[2:3]
	v_cndmask_b32_e64 v11, 0, -1, vcc
	v_cmp_le_u32_e32 vcc, s18, v14
	s_nop 1
	v_cndmask_b32_e64 v13, 0, -1, vcc
	v_cmp_eq_u32_e32 vcc, s19, v1
	s_nop 1
	v_cndmask_b32_e32 v1, v11, v13, vcc
	v_cmp_ne_u32_e32 vcc, 0, v1
	v_cndmask_b32_e64 v1, v12, v10, s[2:3]
	s_nop 0
	v_cndmask_b32_e32 v9, v9, v5, vcc
	v_cndmask_b32_e32 v8, v8, v1, vcc
.LBB0_4:                                ;   in Loop: Header=BB0_2 Depth=1
	s_andn2_saveexec_b64 s[2:3], s[20:21]
	s_cbranch_execz .LBB0_6
; %bb.5:                                ;   in Loop: Header=BB0_2 Depth=1
	v_cvt_f32_u32_e32 v1, s18
	s_sub_i32 s20, 0, s18
	v_rcp_iflag_f32_e32 v1, v1
	s_nop 0
	v_mul_f32_e32 v1, 0x4f7ffffe, v1
	v_cvt_u32_f32_e32 v1, v1
	v_mul_lo_u32 v5, s20, v1
	v_mul_hi_u32 v5, v1, v5
	v_add_u32_e32 v1, v1, v5
	v_mul_hi_u32 v1, v6, v1
	v_mul_lo_u32 v5, v1, s18
	v_sub_u32_e32 v5, v6, v5
	v_add_u32_e32 v8, 1, v1
	v_subrev_u32_e32 v9, s18, v5
	v_cmp_le_u32_e32 vcc, s18, v5
	s_nop 1
	v_cndmask_b32_e32 v5, v5, v9, vcc
	v_cndmask_b32_e32 v1, v1, v8, vcc
	v_add_u32_e32 v8, 1, v1
	v_cmp_le_u32_e32 vcc, s18, v5
	v_mov_b32_e32 v9, v4
	s_nop 0
	v_cndmask_b32_e32 v8, v1, v8, vcc
.LBB0_6:                                ;   in Loop: Header=BB0_2 Depth=1
	s_or_b64 exec, exec, s[2:3]
	v_mad_u64_u32 v[10:11], s[2:3], v8, s18, 0
	s_load_dwordx2 s[2:3], s[12:13], 0x0
	v_mul_lo_u32 v1, v9, s18
	v_mul_lo_u32 v5, v8, s19
	v_add3_u32 v1, v11, v5, v1
	v_sub_co_u32_e32 v5, vcc, v6, v10
	s_add_u32 s14, s14, 1
	s_nop 0
	v_subb_co_u32_e32 v1, vcc, v7, v1, vcc
	s_addc_u32 s15, s15, 0
	s_waitcnt lgkmcnt(0)
	v_mul_lo_u32 v1, s2, v1
	v_mul_lo_u32 v6, s3, v5
	v_mad_u64_u32 v[2:3], s[2:3], s2, v5, v[2:3]
	s_add_u32 s12, s12, 8
	v_add3_u32 v3, v6, v3, v1
	s_addc_u32 s13, s13, 0
	v_mov_b64_e32 v[6:7], s[6:7]
	s_add_u32 s16, s16, 8
	v_cmp_ge_u64_e32 vcc, s[14:15], v[6:7]
	s_addc_u32 s17, s17, 0
	s_cbranch_vccnz .LBB0_9
; %bb.7:                                ;   in Loop: Header=BB0_2 Depth=1
	v_mov_b64_e32 v[6:7], v[8:9]
	s_branch .LBB0_2
.LBB0_8:
	v_mov_b64_e32 v[8:9], v[6:7]
.LBB0_9:
	s_lshl_b64 s[2:3], s[6:7], 3
	s_add_u32 s2, s10, s2
	s_addc_u32 s3, s11, s3
	s_load_dwordx2 s[6:7], s[2:3], 0x0
	s_load_dwordx2 s[10:11], s[0:1], 0x20
                                        ; implicit-def: $vgpr12_vgpr13
                                        ; implicit-def: $vgpr16_vgpr17
                                        ; implicit-def: $vgpr20_vgpr21
                                        ; implicit-def: $vgpr28_vgpr29
                                        ; implicit-def: $vgpr40_vgpr41
                                        ; implicit-def: $vgpr48_vgpr49
                                        ; implicit-def: $vgpr56_vgpr57
                                        ; implicit-def: $vgpr60_vgpr61
                                        ; implicit-def: $vgpr64_vgpr65
                                        ; implicit-def: $vgpr68_vgpr69
                                        ; implicit-def: $vgpr72_vgpr73
                                        ; implicit-def: $vgpr52_vgpr53
                                        ; implicit-def: $vgpr44_vgpr45
                                        ; implicit-def: $vgpr36_vgpr37
                                        ; implicit-def: $vgpr32_vgpr33
                                        ; implicit-def: $vgpr24_vgpr25
	s_waitcnt lgkmcnt(0)
	v_mad_u64_u32 v[2:3], s[0:1], s6, v8, v[2:3]
	v_mul_lo_u32 v1, s6, v9
	v_mul_lo_u32 v4, s7, v8
	s_mov_b32 s0, 0x1818182
	v_add3_u32 v3, v4, v3, v1
	v_mul_hi_u32 v1, v0, s0
	v_mul_u32_u24_e32 v1, 0xaa, v1
	v_sub_u32_e32 v90, v0, v1
	s_movk_i32 s0, 0x78
	v_cmp_gt_u64_e32 vcc, s[10:11], v[8:9]
	v_cmp_gt_u32_e64 s[0:1], s0, v90
	s_and_b64 s[2:3], vcc, s[0:1]
	v_lshl_add_u64 v[252:253], v[2:3], 4, s[8:9]
                                        ; implicit-def: $vgpr8_vgpr9
	s_and_saveexec_b64 s[6:7], s[2:3]
	s_cbranch_execz .LBB0_11
; %bb.10:
	v_mov_b32_e32 v91, 0
	v_lshl_add_u64 v[0:1], v[90:91], 4, v[252:253]
	s_movk_i32 s2, 0x1000
	v_add_co_u32_e64 v2, s[2:3], s2, v0
	global_load_dwordx4 v[6:9], v[0:1], off
	global_load_dwordx4 v[10:13], v[0:1], off offset:1920
	v_addc_co_u32_e64 v3, s[2:3], 0, v1, s[2:3]
	s_movk_i32 s2, 0x2000
	s_nop 0
	v_add_co_u32_e64 v4, s[2:3], s2, v0
	global_load_dwordx4 v[14:17], v[0:1], off offset:3840
	global_load_dwordx4 v[22:25], v[2:3], off offset:1664
	v_addc_co_u32_e64 v5, s[2:3], 0, v1, s[2:3]
	s_movk_i32 s2, 0x3000
	global_load_dwordx4 v[30:33], v[2:3], off offset:3584
	global_load_dwordx4 v[18:21], v[4:5], off offset:1408
	v_add_co_u32_e64 v2, s[2:3], s2, v0
	v_or_b32_e32 v54, 0x780, v90
	s_nop 0
	v_addc_co_u32_e64 v3, s[2:3], 0, v1, s[2:3]
	s_movk_i32 s2, 0x4000
	global_load_dwordx4 v[26:29], v[4:5], off offset:3328
	global_load_dwordx4 v[34:37], v[2:3], off offset:1152
	v_add_co_u32_e64 v4, s[2:3], s2, v0
	v_mov_b32_e32 v55, v91
	s_nop 0
	v_addc_co_u32_e64 v5, s[2:3], 0, v1, s[2:3]
	s_movk_i32 s2, 0x5000
	global_load_dwordx4 v[42:45], v[2:3], off offset:3072
	global_load_dwordx4 v[38:41], v[4:5], off offset:896
	v_add_co_u32_e64 v2, s[2:3], s2, v0
	v_lshl_add_u64 v[74:75], v[54:55], 4, v[252:253]
	s_nop 0
	v_addc_co_u32_e64 v3, s[2:3], 0, v1, s[2:3]
	s_movk_i32 s2, 0x6000
	global_load_dwordx4 v[46:49], v[4:5], off offset:2816
	global_load_dwordx4 v[50:53], v[2:3], off offset:640
	v_add_co_u32_e64 v4, s[2:3], s2, v0
	s_nop 1
	v_addc_co_u32_e64 v5, s[2:3], 0, v1, s[2:3]
	s_movk_i32 s2, 0x7000
	s_nop 0
	v_add_co_u32_e64 v0, s[2:3], s2, v0
	s_nop 1
	v_addc_co_u32_e64 v1, s[2:3], 0, v1, s[2:3]
	global_load_dwordx4 v[70:73], v[2:3], off offset:2560
	global_load_dwordx4 v[66:69], v[4:5], off offset:384
	;; [unrolled: 1-line block ×4, first 2 shown]
	global_load_dwordx4 v[54:57], v[74:75], off
.LBB0_11:
	s_or_b64 exec, exec, s[6:7]
	s_mov_b32 s18, 0x5d8e7cdc
	s_waitcnt vmcnt(0)
	v_add_f64 v[80:81], v[12:13], -v[56:57]
	s_mov_b32 s2, 0x370991
	s_mov_b32 s19, 0xbfd71e95
	;; [unrolled: 1-line block ×3, first 2 shown]
	v_add_f64 v[88:89], v[10:11], v[54:55]
	s_mov_b32 s3, 0x3fedd6d0
	v_mul_f64 v[4:5], v[80:81], s[18:19]
	s_mov_b32 s6, 0x75d4884
	s_mov_b32 s29, 0xbfe58eea
	v_add_f64 v[108:109], v[16:17], -v[60:61]
	v_fma_f64 v[0:1], v[88:89], s[2:3], -v[4:5]
	s_mov_b32 s7, 0x3fe7a5f6
	v_add_f64 v[128:129], v[14:15], v[58:59]
	v_mul_f64 v[74:75], v[108:109], s[28:29]
	s_mov_b32 s24, 0xeb564b22
	v_add_f64 v[0:1], v[0:1], v[6:7]
	v_fma_f64 v[2:3], v[128:129], s[6:7], -v[74:75]
	v_mul_f64 v[76:77], v[80:81], s[28:29]
	s_mov_b32 s10, 0x3259b75e
	s_mov_b32 s25, 0xbfefdd0d
	v_add_f64 v[0:1], v[2:3], v[0:1]
	v_fma_f64 v[2:3], v[88:89], s[6:7], -v[76:77]
	s_mov_b32 s11, 0x3fb79ee6
	v_mul_f64 v[78:79], v[108:109], s[24:25]
	s_mov_b32 s30, 0x7c9e640b
	v_add_f64 v[2:3], v[2:3], v[6:7]
	v_fma_f64 v[82:83], v[128:129], s[10:11], -v[78:79]
	s_mov_b32 s12, 0x2b2883cd
	s_mov_b32 s31, 0xbfeca52d
	v_add_f64 v[2:3], v[82:83], v[2:3]
	s_mov_b32 s13, 0x3fdc86fa
	v_mul_f64 v[82:83], v[80:81], s[30:31]
	s_mov_b32 s22, 0x6c9a05f6
	v_fma_f64 v[84:85], v[88:89], s[12:13], -v[82:83]
	s_mov_b32 s8, 0x6ed5f1bb
	s_mov_b32 s23, 0xbfe9895b
	v_add_f64 v[86:87], v[84:85], v[6:7]
	s_mov_b32 s9, 0xbfe348c8
	v_mul_f64 v[84:85], v[108:109], s[22:23]
	s_mov_b32 s26, 0xacd6c6b4
	v_fma_f64 v[94:95], v[128:129], s[8:9], -v[84:85]
	v_mul_f64 v[100:101], v[80:81], s[24:25]
	s_mov_b32 s14, 0x7faef3
	s_mov_b32 s27, 0xbfc7851a
	;; [unrolled: 1-line block ×3, first 2 shown]
	v_add_f64 v[94:95], v[94:95], v[86:87]
	v_fma_f64 v[86:87], v[88:89], s[10:11], -v[100:101]
	s_mov_b32 s15, 0xbfef7484
	v_mul_f64 v[106:107], v[108:109], s[26:27]
	s_mov_b32 s20, 0xc61f0d01
	s_mov_b32 s37, 0xbfeec746
	;; [unrolled: 1-line block ×3, first 2 shown]
	v_add_f64 v[86:87], v[86:87], v[6:7]
	v_fma_f64 v[96:97], v[128:129], s[14:15], -v[106:107]
	s_mov_b32 s21, 0xbfd183b1
	v_mul_f64 v[116:117], v[80:81], s[36:37]
	s_mov_b32 s16, 0x910ea3b9
	s_mov_b32 s41, 0x3fe0d888
	v_add_f64 v[96:97], v[96:97], v[86:87]
	v_fma_f64 v[86:87], v[88:89], s[20:21], -v[116:117]
	s_mov_b32 s17, 0xbfeb34fa
	v_mul_f64 v[118:119], v[108:109], s[40:41]
	v_add_f64 v[86:87], v[86:87], v[6:7]
	v_fma_f64 v[98:99], v[128:129], s[16:17], -v[118:119]
	v_add_f64 v[140:141], v[24:25], -v[64:65]
	v_add_f64 v[98:99], v[98:99], v[86:87]
	v_add_f64 v[170:171], v[62:63], v[22:23]
	v_mul_f64 v[86:87], v[140:141], s[30:31]
	v_fma_f64 v[102:103], v[170:171], s[12:13], -v[86:87]
	v_add_f64 v[0:1], v[102:103], v[0:1]
	v_mul_f64 v[102:103], v[140:141], s[22:23]
	s_mov_b32 s47, 0x3fc7851a
	s_mov_b32 s46, s26
	v_fma_f64 v[104:105], v[170:171], s[8:9], -v[102:103]
	v_mul_f64 v[110:111], v[140:141], s[46:47]
	s_mov_b32 s43, 0x3feec746
	s_mov_b32 s42, s36
	v_add_f64 v[2:3], v[104:105], v[2:3]
	v_fma_f64 v[104:105], v[170:171], s[14:15], -v[110:111]
	v_mul_f64 v[122:123], v[140:141], s[42:43]
	s_mov_b32 s35, 0x3fe58eea
	s_mov_b32 s34, s28
	v_add_f64 v[94:95], v[104:105], v[94:95]
	v_fma_f64 v[104:105], v[170:171], s[20:21], -v[122:123]
	v_mul_f64 v[136:137], v[140:141], s[34:35]
	v_add_f64 v[96:97], v[104:105], v[96:97]
	v_fma_f64 v[104:105], v[170:171], s[6:7], -v[136:137]
	v_add_f64 v[158:159], v[32:33], -v[68:69]
	v_add_f64 v[98:99], v[104:105], v[98:99]
	v_add_f64 v[176:177], v[66:67], v[30:31]
	v_mul_f64 v[104:105], v[158:159], s[24:25]
	v_fma_f64 v[112:113], v[176:177], s[10:11], -v[104:105]
	v_add_f64 v[0:1], v[112:113], v[0:1]
	v_mul_f64 v[112:113], v[158:159], s[26:27]
	v_fma_f64 v[114:115], v[176:177], s[14:15], -v[112:113]
	v_mul_f64 v[124:125], v[158:159], s[42:43]
	s_mov_b32 s39, 0x3fd71e95
	s_mov_b32 s38, s18
	v_add_f64 v[2:3], v[114:115], v[2:3]
	v_fma_f64 v[114:115], v[176:177], s[20:21], -v[124:125]
	v_mul_f64 v[138:139], v[158:159], s[38:39]
	v_add_f64 v[94:95], v[114:115], v[94:95]
	v_fma_f64 v[114:115], v[176:177], s[2:3], -v[138:139]
	v_mul_f64 v[146:147], v[158:159], s[30:31]
	v_add_f64 v[96:97], v[114:115], v[96:97]
	v_fma_f64 v[114:115], v[176:177], s[12:13], -v[146:147]
	v_add_f64 v[186:187], v[20:21], -v[72:73]
	v_add_f64 v[98:99], v[114:115], v[98:99]
	v_add_f64 v[178:179], v[18:19], v[70:71]
	v_mul_f64 v[114:115], v[186:187], s[36:37]
	v_fma_f64 v[120:121], v[178:179], s[20:21], -v[114:115]
	v_mul_f64 v[126:127], v[186:187], s[40:41]
	v_add_f64 v[0:1], v[120:121], v[0:1]
	v_fma_f64 v[120:121], v[178:179], s[16:17], -v[126:127]
	v_mul_f64 v[132:133], v[186:187], s[34:35]
	v_add_f64 v[2:3], v[120:121], v[2:3]
	;; [unrolled: 3-line block ×4, first 2 shown]
	v_fma_f64 v[120:121], v[178:179], s[14:15], -v[154:155]
	v_add_f64 v[206:207], v[28:29], -v[52:53]
	v_add_f64 v[98:99], v[120:121], v[98:99]
	v_add_f64 v[188:189], v[26:27], v[50:51]
	v_mul_f64 v[120:121], v[206:207], s[22:23]
	v_fma_f64 v[130:131], v[188:189], s[8:9], -v[120:121]
	v_add_f64 v[0:1], v[130:131], v[0:1]
	v_mul_f64 v[130:131], v[206:207], s[42:43]
	v_fma_f64 v[134:135], v[188:189], s[20:21], -v[130:131]
	v_mul_f64 v[142:143], v[206:207], s[18:19]
	s_mov_b32 s45, 0xbfe0d888
	s_mov_b32 s44, s40
	v_add_f64 v[2:3], v[134:135], v[2:3]
	v_fma_f64 v[134:135], v[188:189], s[2:3], -v[142:143]
	v_mul_f64 v[156:157], v[206:207], s[44:45]
	s_mov_b32 s49, 0x3fefdd0d
	s_mov_b32 s48, s24
	v_add_f64 v[94:95], v[134:135], v[94:95]
	v_fma_f64 v[134:135], v[188:189], s[16:17], -v[156:157]
	v_mul_f64 v[182:183], v[206:207], s[48:49]
	v_add_f64 v[96:97], v[134:135], v[96:97]
	v_fma_f64 v[134:135], v[188:189], s[10:11], -v[182:183]
	v_add_f64 v[218:219], v[36:37], -v[48:49]
	v_add_f64 v[98:99], v[134:135], v[98:99]
	v_add_f64 v[200:201], v[46:47], v[34:35]
	v_mul_f64 v[134:135], v[218:219], s[44:45]
	v_fma_f64 v[148:149], v[200:201], s[16:17], -v[134:135]
	s_mov_b32 s51, 0x3feca52d
	s_mov_b32 s50, s30
	v_add_f64 v[152:153], v[148:149], v[0:1]
	v_mul_f64 v[148:149], v[218:219], s[50:51]
	v_fma_f64 v[0:1], v[200:201], s[12:13], -v[148:149]
	v_mul_f64 v[160:161], v[218:219], s[24:25]
	s_mov_b32 s53, 0x3fe9895b
	s_mov_b32 s52, s22
	v_add_f64 v[0:1], v[0:1], v[2:3]
	v_fma_f64 v[2:3], v[200:201], s[10:11], -v[160:161]
	v_mul_f64 v[190:191], v[218:219], s[52:53]
	v_add_f64 v[2:3], v[2:3], v[94:95]
	v_fma_f64 v[94:95], v[200:201], s[8:9], -v[190:191]
	v_mul_f64 v[208:209], v[218:219], s[18:19]
	v_add_f64 v[220:221], v[44:45], -v[40:41]
	v_add_f64 v[96:97], v[94:95], v[96:97]
	v_fma_f64 v[94:95], v[200:201], s[2:3], -v[208:209]
	v_add_f64 v[212:213], v[38:39], v[42:43]
	v_mul_f64 v[162:163], v[220:221], s[38:39]
	v_add_f64 v[98:99], v[94:95], v[98:99]
	v_fma_f64 v[94:95], v[212:213], s[2:3], -v[162:163]
	v_mul_f64 v[184:185], v[220:221], s[44:45]
	v_add_f64 v[254:255], v[94:95], v[0:1]
	v_fma_f64 v[94:95], v[212:213], s[16:17], -v[184:185]
	;; [unrolled: 3-line block ×5, first 2 shown]
	v_add_f64 v[192:193], v[2:3], v[152:153]
	s_and_saveexec_b64 s[54:55], s[0:1]
	s_cbranch_execz .LBB0_13
; %bb.12:
	v_mul_f64 v[248:249], v[88:89], s[14:15]
	v_mul_f64 v[244:245], v[128:129], s[2:3]
	v_fma_f64 v[250:251], s[46:47], v[80:81], v[248:249]
	v_mul_f64 v[242:243], v[170:171], s[16:17]
	v_fma_f64 v[246:247], s[18:19], v[108:109], v[244:245]
	v_add_f64 v[250:251], v[250:251], v[6:7]
	v_mul_f64 v[240:241], v[176:177], s[6:7]
	v_add_f64 v[246:247], v[246:247], v[250:251]
	v_fma_f64 v[250:251], s[40:41], v[140:141], v[242:243]
	v_mul_f64 v[238:239], v[178:179], s[8:9]
	v_add_f64 v[246:247], v[250:251], v[246:247]
	v_fma_f64 v[250:251], s[28:29], v[158:159], v[240:241]
	;; [unrolled: 3-line block ×4, first 2 shown]
	v_mov_b64_e32 v[94:95], v[198:199]
	v_mul_f64 v[198:199], v[212:213], s[10:11]
	v_fma_f64 v[234:235], s[42:43], v[218:219], v[232:233]
	v_add_f64 v[246:247], v[250:251], v[246:247]
	v_fma_f64 v[168:169], s[24:25], v[220:221], v[198:199]
	v_add_f64 v[234:235], v[234:235], v[246:247]
	v_fmac_f64_e32 v[248:249], s[26:27], v[80:81]
	v_add_f64 v[168:169], v[168:169], v[234:235]
	v_fmac_f64_e32 v[244:245], s[38:39], v[108:109]
	v_add_f64 v[234:235], v[248:249], v[6:7]
	v_mul_f64 v[248:249], v[88:89], s[16:17]
	v_fmac_f64_e32 v[242:243], s[44:45], v[140:141]
	v_add_f64 v[234:235], v[244:245], v[234:235]
	v_mul_f64 v[244:245], v[128:129], s[12:13]
	v_fma_f64 v[250:251], s[40:41], v[80:81], v[248:249]
	v_fmac_f64_e32 v[248:249], s[44:45], v[80:81]
	v_mul_f64 v[152:153], v[88:89], s[2:3]
	v_mul_f64 v[174:175], v[88:89], s[6:7]
	v_mov_b64_e32 v[92:93], v[196:197]
	v_mul_f64 v[196:197], v[88:89], s[12:13]
	v_mul_f64 v[214:215], v[88:89], s[10:11]
	;; [unrolled: 1-line block ×3, first 2 shown]
	v_fmac_f64_e32 v[240:241], s[34:35], v[158:159]
	v_add_f64 v[234:235], v[242:243], v[234:235]
	v_mul_f64 v[242:243], v[170:171], s[10:11]
	v_fma_f64 v[246:247], s[30:31], v[108:109], v[244:245]
	v_add_f64 v[250:251], v[250:251], v[6:7]
	v_fmac_f64_e32 v[244:245], s[50:51], v[108:109]
	v_add_f64 v[248:249], v[248:249], v[6:7]
	v_mul_f64 v[88:89], v[88:89], s[8:9]
	v_mul_f64 v[164:165], v[128:129], s[6:7]
	;; [unrolled: 1-line block ×6, first 2 shown]
	v_fmac_f64_e32 v[238:239], s[22:23], v[186:187]
	v_add_f64 v[234:235], v[240:241], v[234:235]
	v_mul_f64 v[240:241], v[176:177], s[8:9]
	v_add_f64 v[246:247], v[246:247], v[250:251]
	v_fma_f64 v[250:251], s[48:49], v[140:141], v[242:243]
	v_fmac_f64_e32 v[242:243], s[24:25], v[140:141]
	v_add_f64 v[244:245], v[244:245], v[248:249]
	v_mul_f64 v[128:129], v[128:129], s[20:21]
	v_fma_f64 v[248:249], s[52:53], v[80:81], v[88:89]
	v_mul_f64 v[166:167], v[170:171], s[12:13]
	v_mov_b64_e32 v[2:3], v[192:193]
	v_mul_f64 v[192:193], v[170:171], s[8:9]
	v_mul_f64 v[210:211], v[170:171], s[14:15]
	;; [unrolled: 1-line block ×4, first 2 shown]
	v_fmac_f64_e32 v[236:237], s[50:51], v[206:207]
	v_add_f64 v[234:235], v[238:239], v[234:235]
	v_mul_f64 v[238:239], v[178:179], s[2:3]
	v_add_f64 v[246:247], v[250:251], v[246:247]
	v_fma_f64 v[250:251], s[22:23], v[158:159], v[240:241]
	v_fmac_f64_e32 v[240:241], s[52:53], v[158:159]
	v_add_f64 v[242:243], v[242:243], v[244:245]
	v_mul_f64 v[170:171], v[170:171], s[2:3]
	v_fma_f64 v[244:245], s[36:37], v[108:109], v[128:129]
	v_add_f64 v[248:249], v[248:249], v[6:7]
	v_fmac_f64_e32 v[232:233], s[36:37], v[218:219]
	v_add_f64 v[234:235], v[236:237], v[234:235]
	v_mul_f64 v[236:237], v[188:189], s[14:15]
	v_add_f64 v[246:247], v[250:251], v[246:247]
	v_fma_f64 v[250:251], s[38:39], v[186:187], v[238:239]
	v_fmac_f64_e32 v[238:239], s[18:19], v[186:187]
	v_add_f64 v[240:241], v[240:241], v[242:243]
	v_mul_f64 v[242:243], v[176:177], s[16:17]
	v_add_f64 v[244:245], v[244:245], v[248:249]
	v_fma_f64 v[248:249], s[38:39], v[140:141], v[170:171]
	;; [unrolled: 5-line block ×6, first 2 shown]
	v_fmac_f64_e32 v[128:129], s[42:43], v[108:109]
	v_add_f64 v[88:89], v[88:89], v[6:7]
	v_add_f64 v[246:247], v[250:251], v[246:247]
	v_fma_f64 v[250:251], s[42:43], v[220:221], v[232:233]
	v_fmac_f64_e32 v[232:233], s[36:37], v[220:221]
	v_add_f64 v[234:235], v[234:235], v[236:237]
	v_mul_f64 v[236:237], v[200:201], s[14:15]
	v_add_f64 v[244:245], v[248:249], v[244:245]
	v_fma_f64 v[248:249], s[34:35], v[206:207], v[238:239]
	v_fmac_f64_e32 v[170:171], s[18:19], v[140:141]
	v_add_f64 v[88:89], v[128:129], v[88:89]
	v_add_f64 v[232:233], v[232:233], v[234:235]
	v_mul_f64 v[234:235], v[212:213], s[12:13]
	v_add_f64 v[244:245], v[248:249], v[244:245]
	v_fma_f64 v[248:249], s[46:47], v[218:219], v[236:237]
	v_fmac_f64_e32 v[242:243], s[44:45], v[158:159]
	v_add_f64 v[88:89], v[170:171], v[88:89]
	v_add_f64 v[116:117], v[116:117], v[222:223]
	;; [unrolled: 1-line block ×7, first 2 shown]
	v_fma_f64 v[248:249], s[30:31], v[220:221], v[234:235]
	v_fmac_f64_e32 v[240:241], s[48:49], v[186:187]
	v_add_f64 v[88:89], v[242:243], v[88:89]
	v_add_f64 v[116:117], v[116:117], v[6:7]
	;; [unrolled: 1-line block ×9, first 2 shown]
	v_mul_f64 v[248:249], v[176:177], s[2:3]
	v_fmac_f64_e32 v[238:239], s[28:29], v[206:207]
	v_add_f64 v[88:89], v[240:241], v[88:89]
	v_add_f64 v[122:123], v[122:123], v[228:229]
	;; [unrolled: 1-line block ×4, first 2 shown]
	v_fmac_f64_e32 v[236:237], s[26:27], v[218:219]
	v_mul_f64 v[186:187], v[178:179], s[12:13]
	v_add_f64 v[88:89], v[238:239], v[88:89]
	v_add_f64 v[138:139], v[138:139], v[248:249]
	;; [unrolled: 1-line block ×4, first 2 shown]
	v_fmac_f64_e32 v[234:235], s[50:51], v[220:221]
	v_mul_f64 v[80:81], v[188:189], s[16:17]
	v_add_f64 v[88:89], v[236:237], v[88:89]
	v_add_f64 v[118:119], v[118:119], v[226:227]
	;; [unrolled: 1-line block ×5, first 2 shown]
	v_mul_f64 v[240:241], v[200:201], s[8:9]
	v_add_f64 v[88:89], v[234:235], v[88:89]
	v_mul_f64 v[234:235], v[212:213], s[8:9]
	v_add_f64 v[136:137], v[136:137], v[230:231]
	v_add_f64 v[116:117], v[118:119], v[116:117]
	;; [unrolled: 1-line block ×7, first 2 shown]
	v_mul_f64 v[250:251], v[176:177], s[20:21]
	v_mul_f64 v[238:239], v[212:213], s[14:15]
	;; [unrolled: 1-line block ×3, first 2 shown]
	v_add_f64 v[216:217], v[216:217], v[234:235]
	v_mul_f64 v[234:235], v[212:213], s[16:17]
	v_mul_f64 v[212:213], v[212:213], s[6:7]
	v_add_f64 v[116:117], v[136:137], v[116:117]
	v_add_f64 v[136:137], v[190:191], v[240:241]
	;; [unrolled: 1-line block ×6, first 2 shown]
	v_mul_f64 v[206:207], v[178:179], s[6:7]
	v_add_f64 v[118:119], v[204:205], v[212:213]
	v_add_f64 v[80:81], v[136:137], v[80:81]
	;; [unrolled: 1-line block ×6, first 2 shown]
	v_mov_b64_e32 v[0:1], v[194:195]
	v_mul_f64 v[194:195], v[176:177], s[14:15]
	v_mul_f64 v[108:109], v[188:189], s[2:3]
	v_add_f64 v[80:81], v[118:119], v[80:81]
	v_add_f64 v[118:119], v[132:133], v[206:207]
	v_add_f64 v[82:83], v[122:123], v[82:83]
	v_add_f64 v[102:103], v[102:103], v[192:193]
	v_add_f64 v[76:77], v[78:79], v[76:77]
	v_add_f64 v[6:7], v[42:43], v[6:7]
	v_mul_f64 v[218:219], v[178:179], s[16:17]
	v_mul_f64 v[242:243], v[200:201], s[10:11]
	v_add_f64 v[108:109], v[142:143], v[108:109]
	v_add_f64 v[82:83], v[118:119], v[82:83]
	v_add_f64 v[110:111], v[112:113], v[194:195]
	v_add_f64 v[76:77], v[102:103], v[76:77]
	v_add_f64 v[74:75], v[74:75], v[164:165]
	v_add_f64 v[6:7], v[38:39], v[6:7]
	;; [unrolled: 8-line block ×3, first 2 shown]
	v_add_f64 v[6:7], v[46:47], v[6:7]
	v_mul_f64 v[176:177], v[176:177], s[12:13]
	v_mul_f64 v[220:221], v[178:179], s[20:21]
	;; [unrolled: 1-line block ×3, first 2 shown]
	v_add_f64 v[100:101], v[184:185], v[234:235]
	v_add_f64 v[82:83], v[106:107], v[82:83]
	;; [unrolled: 1-line block ×7, first 2 shown]
	v_mul_f64 v[178:179], v[178:179], s[14:15]
	v_mul_f64 v[158:159], v[188:189], s[8:9]
	v_add_f64 v[146:147], v[146:147], v[176:177]
	v_add_f64 v[82:83], v[100:101], v[82:83]
	;; [unrolled: 1-line block ×7, first 2 shown]
	v_mul_f64 v[188:189], v[188:189], s[10:11]
	v_mul_f64 v[128:129], v[200:201], s[16:17]
	v_add_f64 v[154:155], v[154:155], v[178:179]
	v_add_f64 v[116:117], v[146:147], v[116:117]
	;; [unrolled: 1-line block ×7, first 2 shown]
	v_mul_f64 v[200:201], v[200:201], s[2:3]
	v_add_f64 v[182:183], v[182:183], v[188:189]
	v_add_f64 v[116:117], v[154:155], v[116:117]
	;; [unrolled: 1-line block ×11, first 2 shown]
	s_movk_i32 s33, 0x88
	v_add_f64 v[116:117], v[200:201], v[116:117]
	v_mov_b64_e32 v[194:195], v[0:1]
	v_add_f64 v[4:5], v[78:79], v[4:5]
	v_add_f64 v[6:7], v[54:55], v[6:7]
	v_mad_u32_u24 v0, v90, s33, 0
	v_add_f64 v[116:117], v[216:217], v[116:117]
	v_mov_b64_e32 v[196:197], v[92:93]
	v_mov_b64_e32 v[192:193], v[2:3]
	ds_write2_b64 v0, v[6:7], v[4:5] offset1:1
	ds_write2_b64 v0, v[76:77], v[82:83] offset0:2 offset1:3
	ds_write2_b64 v0, v[80:81], v[116:117] offset0:4 offset1:5
	;; [unrolled: 1-line block ×4, first 2 shown]
	v_mov_b64_e32 v[198:199], v[94:95]
	ds_write2_b64 v0, v[246:247], v[244:245] offset0:10 offset1:11
	ds_write2_b64 v0, v[94:95], v[92:93] offset0:12 offset1:13
	;; [unrolled: 1-line block ×3, first 2 shown]
	ds_write_b64 v0, v[2:3] offset:128
.LBB0_13:
	s_or_b64 exec, exec, s[54:55]
	v_add_f64 v[172:173], v[10:11], -v[54:55]
	v_add_f64 v[170:171], v[12:13], v[56:57]
	v_mul_f64 v[214:215], v[172:173], s[18:19]
	v_add_f64 v[158:159], v[14:15], -v[58:59]
	v_fma_f64 v[4:5], s[2:3], v[170:171], v[214:215]
	v_mul_f64 v[216:217], v[172:173], s[28:29]
	v_add_f64 v[156:157], v[16:17], v[60:61]
	v_mul_f64 v[174:175], v[158:159], s[28:29]
	v_add_f64 v[144:145], v[22:23], -v[62:63]
	v_add_f64 v[4:5], v[4:5], v[8:9]
	v_fma_f64 v[6:7], s[6:7], v[170:171], v[216:217]
	v_mul_f64 v[218:219], v[172:173], s[30:31]
	v_fma_f64 v[14:15], s[6:7], v[156:157], v[174:175]
	v_mul_f64 v[176:177], v[158:159], s[24:25]
	v_add_f64 v[142:143], v[64:65], v[24:25]
	v_mul_f64 v[160:161], v[144:145], s[30:31]
	v_add_f64 v[130:131], v[30:31], -v[66:67]
	v_add_f64 v[6:7], v[6:7], v[8:9]
	v_fma_f64 v[10:11], s[12:13], v[170:171], v[218:219]
	v_mul_f64 v[220:221], v[172:173], s[24:25]
	v_add_f64 v[4:5], v[14:15], v[4:5]
	v_fma_f64 v[14:15], s[10:11], v[156:157], v[176:177]
	v_mul_f64 v[178:179], v[158:159], s[22:23]
	v_fma_f64 v[22:23], s[12:13], v[142:143], v[160:161]
	v_mul_f64 v[162:163], v[144:145], s[22:23]
	v_add_f64 v[118:119], v[68:69], v[32:33]
	v_mul_f64 v[146:147], v[130:131], s[24:25]
	v_add_f64 v[110:111], v[18:19], -v[70:71]
	v_add_f64 v[10:11], v[10:11], v[8:9]
	v_fma_f64 v[54:55], s[10:11], v[170:171], v[220:221]
	v_mul_f64 v[222:223], v[172:173], s[36:37]
	v_add_f64 v[6:7], v[14:15], v[6:7]
	v_fma_f64 v[14:15], s[8:9], v[156:157], v[178:179]
	v_mul_f64 v[182:183], v[158:159], s[26:27]
	;; [unrolled: 3-line block ×3, first 2 shown]
	v_fma_f64 v[30:31], s[10:11], v[118:119], v[146:147]
	v_mul_f64 v[148:149], v[130:131], s[26:27]
	v_add_f64 v[104:105], v[20:21], v[72:73]
	v_mul_f64 v[132:133], v[110:111], s[36:37]
	v_add_f64 v[54:55], v[54:55], v[8:9]
	v_fma_f64 v[74:75], s[20:21], v[170:171], v[222:223]
	v_add_f64 v[10:11], v[14:15], v[10:11]
	v_fma_f64 v[14:15], s[14:15], v[156:157], v[182:183]
	v_mul_f64 v[188:189], v[158:159], s[40:41]
	v_add_f64 v[6:7], v[22:23], v[6:7]
	v_fma_f64 v[22:23], s[14:15], v[142:143], v[164:165]
	v_mul_f64 v[166:167], v[144:145], s[42:43]
	;; [unrolled: 3-line block ×3, first 2 shown]
	v_fma_f64 v[18:19], s[20:21], v[104:105], v[132:133]
	v_mul_f64 v[134:135], v[110:111], s[40:41]
	v_add_f64 v[74:75], v[74:75], v[8:9]
	v_add_f64 v[14:15], v[14:15], v[54:55]
	v_fma_f64 v[54:55], s[16:17], v[156:157], v[188:189]
	v_add_f64 v[10:11], v[22:23], v[10:11]
	v_fma_f64 v[22:23], s[20:21], v[142:143], v[166:167]
	v_mul_f64 v[168:169], v[144:145], s[34:35]
	v_add_f64 v[6:7], v[30:31], v[6:7]
	v_fma_f64 v[30:31], s[20:21], v[118:119], v[150:151]
	v_mul_f64 v[152:153], v[130:131], s[38:39]
	;; [unrolled: 3-line block ×3, first 2 shown]
	v_add_f64 v[54:55], v[54:55], v[74:75]
	v_add_f64 v[14:15], v[22:23], v[14:15]
	v_fma_f64 v[22:23], s[6:7], v[142:143], v[168:169]
	v_add_f64 v[10:11], v[30:31], v[10:11]
	v_fma_f64 v[30:31], s[2:3], v[118:119], v[152:153]
	v_mul_f64 v[154:155], v[130:131], s[30:31]
	v_add_f64 v[6:7], v[18:19], v[6:7]
	v_fma_f64 v[18:19], s[6:7], v[104:105], v[136:137]
	v_mul_f64 v[138:139], v[110:111], s[30:31]
	v_add_f64 v[22:23], v[22:23], v[54:55]
	v_add_f64 v[14:15], v[30:31], v[14:15]
	v_fma_f64 v[30:31], s[12:13], v[118:119], v[154:155]
	v_add_f64 v[10:11], v[18:19], v[10:11]
	v_fma_f64 v[18:19], s[12:13], v[104:105], v[138:139]
	v_mul_f64 v[140:141], v[110:111], s[26:27]
	v_add_f64 v[102:103], v[26:27], -v[50:51]
	v_add_f64 v[22:23], v[30:31], v[22:23]
	v_add_f64 v[14:15], v[18:19], v[14:15]
	v_fma_f64 v[18:19], s[14:15], v[104:105], v[140:141]
	v_add_f64 v[54:55], v[28:29], v[52:53]
	v_mul_f64 v[120:121], v[102:103], s[22:23]
	v_add_f64 v[18:19], v[18:19], v[22:23]
	v_fma_f64 v[22:23], s[8:9], v[54:55], v[120:121]
	v_mul_f64 v[122:123], v[102:103], s[42:43]
	v_add_f64 v[4:5], v[22:23], v[4:5]
	v_fma_f64 v[22:23], s[20:21], v[54:55], v[122:123]
	;; [unrolled: 3-line block ×4, first 2 shown]
	v_mul_f64 v[128:129], v[102:103], s[48:49]
	v_add_f64 v[34:35], v[34:35], -v[46:47]
	v_add_f64 v[14:15], v[22:23], v[14:15]
	v_fma_f64 v[22:23], s[10:11], v[54:55], v[128:129]
	v_add_f64 v[50:51], v[48:49], v[36:37]
	v_mul_f64 v[106:107], v[34:35], s[44:45]
	v_add_f64 v[18:19], v[22:23], v[18:19]
	v_fma_f64 v[22:23], s[16:17], v[50:51], v[106:107]
	v_mul_f64 v[108:109], v[34:35], s[50:51]
	v_add_f64 v[4:5], v[22:23], v[4:5]
	v_fma_f64 v[22:23], s[12:13], v[50:51], v[108:109]
	;; [unrolled: 3-line block ×4, first 2 shown]
	v_mul_f64 v[116:117], v[34:35], s[18:19]
	v_add_f64 v[30:31], v[42:43], -v[38:39]
	v_add_f64 v[14:15], v[6:7], v[14:15]
	v_fma_f64 v[6:7], s[2:3], v[50:51], v[116:117]
	v_add_f64 v[26:27], v[40:41], v[44:45]
	v_mul_f64 v[62:63], v[30:31], s[26:27]
	v_mul_f64 v[46:47], v[30:31], s[44:45]
	v_add_f64 v[100:101], v[6:7], v[18:19]
	v_fma_f64 v[6:7], s[14:15], v[26:27], v[62:63]
	v_mul_f64 v[58:59], v[30:31], s[38:39]
	v_fma_f64 v[18:19], s[16:17], v[26:27], v[46:47]
	v_mul_f64 v[42:43], v[30:31], s[34:35]
	v_lshl_add_u32 v91, v90, 3, 0
	v_add_u32_e32 v231, 0x154, v90
	v_add_f64 v[6:7], v[6:7], v[4:5]
	v_fma_f64 v[4:5], s[2:3], v[26:27], v[58:59]
	v_add_f64 v[186:187], v[18:19], v[10:11]
	v_fma_f64 v[10:11], s[6:7], v[26:27], v[42:43]
	v_add_u32_e32 v227, 0xe00, v91
	v_add_u32_e32 v226, 0x1800, v91
	;; [unrolled: 1-line block ×5, first 2 shown]
	v_lshl_add_u32 v229, v231, 3, 0
	v_add_f64 v[184:185], v[4:5], v[22:23]
	v_add_f64 v[70:71], v[10:11], v[14:15]
	s_waitcnt lgkmcnt(0)
	s_barrier
	ds_read_b64 v[18:19], v91
	ds_read2_b64 v[78:81], v227 offset0:62 offset1:232
	ds_read2_b64 v[74:77], v226 offset0:82 offset1:252
	;; [unrolled: 1-line block ×3, first 2 shown]
	v_lshl_add_u32 v225, v224, 3, 0
	ds_read2_b64 v[86:89], v230 offset0:38 offset1:208
	ds_read_b64 v[10:11], v229
	ds_read_b64 v[14:15], v225
	ds_read_b64 v[22:23], v91 offset:14960
	v_mul_f64 v[38:39], v[30:31], s[22:23]
	v_fma_f64 v[180:181], s[8:9], v[26:27], v[38:39]
	v_add_f64 v[100:101], v[180:181], v[100:101]
	s_waitcnt lgkmcnt(0)
	s_barrier
	s_and_saveexec_b64 s[18:19], s[0:1]
	s_cbranch_execz .LBB0_15
; %bb.14:
	v_add_f64 v[12:13], v[12:13], v[8:9]
	v_add_f64 v[12:13], v[16:17], v[12:13]
	;; [unrolled: 1-line block ×13, first 2 shown]
	v_mul_f64 v[234:235], v[170:171], s[6:7]
	v_mul_f64 v[242:243], v[156:157], s[6:7]
	;; [unrolled: 1-line block ×3, first 2 shown]
	v_accvgpr_write_b32 a0, v252
	v_mul_f64 v[92:93], v[142:143], s[14:15]
	v_mul_f64 v[94:95], v[142:143], s[6:7]
	;; [unrolled: 1-line block ×5, first 2 shown]
	v_accvgpr_write_b32 a12, v184
	v_mul_f64 v[28:29], v[26:27], s[14:15]
	v_mul_f64 v[20:21], v[26:27], s[6:7]
	v_add_f64 v[12:13], v[64:65], v[12:13]
	s_mov_b32 s14, 0x6c9a05f6
	s_mov_b32 s24, 0x4363dd80
	;; [unrolled: 1-line block ×3, first 2 shown]
	v_mul_f64 v[236:237], v[170:171], s[12:13]
	v_mul_f64 v[250:251], v[156:157], s[16:17]
	v_accvgpr_write_b32 a1, v253
	v_mul_f64 v[252:253], v[142:143], s[12:13]
	v_mul_f64 v[66:67], v[118:119], s[12:13]
	;; [unrolled: 1-line block ×5, first 2 shown]
	v_accvgpr_write_b32 a13, v185
	v_mul_f64 v[184:185], v[50:51], s[16:17]
	v_mul_f64 v[180:181], v[50:51], s[12:13]
	v_mul_f64 v[24:25], v[26:27], s[16:17]
	v_add_f64 v[12:13], v[60:61], v[12:13]
	s_mov_b32 s15, 0xbfe9895b
	s_mov_b32 s16, 0x6ed5f1bb
	;; [unrolled: 1-line block ×6, first 2 shown]
	v_mul_f64 v[232:233], v[170:171], s[2:3]
	v_mul_f64 v[238:239], v[170:171], s[10:11]
	;; [unrolled: 1-line block ×3, first 2 shown]
	v_add_f64 v[12:13], v[56:57], v[12:13]
	v_mul_f64 v[56:57], v[172:173], s[14:15]
	s_mov_b32 s17, 0xbfe348c8
	v_mul_f64 v[64:65], v[172:173], s[24:25]
	s_mov_b32 s27, 0xbfeb34fa
	;; [unrolled: 2-line block ×3, first 2 shown]
	v_add_f64 v[36:37], v[232:233], -v[214:215]
	v_add_f64 v[40:41], v[234:235], -v[216:217]
	;; [unrolled: 1-line block ×5, first 2 shown]
	v_fma_f64 v[60:61], v[170:171], s[16:17], -v[56:57]
	v_fmac_f64_e32 v[56:57], s[16:17], v[170:171]
	v_fma_f64 v[68:69], v[170:171], s[26:27], -v[64:65]
	v_fmac_f64_e32 v[64:65], s[26:27], v[170:171]
	;; [unrolled: 2-line block ×3, first 2 shown]
	v_mul_f64 v[244:245], v[156:157], s[10:11]
	v_add_f64 v[36:37], v[36:37], v[8:9]
	v_add_f64 v[40:41], v[40:41], v[8:9]
	;; [unrolled: 1-line block ×11, first 2 shown]
	v_add_f64 v[72:73], v[242:243], -v[174:175]
	v_mul_f64 v[246:247], v[156:157], s[8:9]
	v_add_f64 v[36:37], v[72:73], v[36:37]
	v_add_f64 v[72:73], v[244:245], -v[176:177]
	v_add_f64 v[40:41], v[72:73], v[40:41]
	v_add_f64 v[72:73], v[246:247], -v[178:179]
	v_accvgpr_write_b32 a2, v192
	v_accvgpr_write_b32 a8, v196
	v_add_f64 v[44:45], v[72:73], v[44:45]
	v_add_f64 v[72:73], v[248:249], -v[182:183]
	v_accvgpr_write_b32 a4, v254
	v_mul_f64 v[4:5], v[118:119], s[2:3]
	v_accvgpr_write_b32 a3, v193
	v_accvgpr_write_b32 a6, v194
	;; [unrolled: 1-line block ×3, first 2 shown]
	v_mul_f64 v[196:197], v[54:55], s[2:3]
	v_accvgpr_write_b32 a14, v186
	v_mul_f64 v[192:193], v[50:51], s[2:3]
	v_mul_f64 v[32:33], v[26:27], s[2:3]
	v_add_f64 v[48:49], v[72:73], v[48:49]
	v_add_f64 v[72:73], v[250:251], -v[188:189]
	s_mov_b32 s3, 0x3feec746
	s_mov_b32 s2, 0x923c349f
	s_mov_b32 s0, 0xc61f0d01
	v_accvgpr_write_b32 a5, v255
	v_mul_f64 v[254:255], v[142:143], s[8:9]
	v_accvgpr_write_b32 a7, v195
	v_mul_f64 v[194:195], v[54:55], s[8:9]
	;; [unrolled: 2-line block ×3, first 2 shown]
	v_mul_f64 v[16:17], v[26:27], s[8:9]
	v_add_f64 v[52:53], v[72:73], v[52:53]
	v_mul_f64 v[72:73], v[158:159], s[2:3]
	s_mov_b32 s1, 0xbfd183b1
	s_mov_b32 s8, 0x7c9e640b
	v_mul_f64 v[96:97], v[118:119], s[10:11]
	v_mul_f64 v[200:201], v[54:55], s[10:11]
	;; [unrolled: 1-line block ×3, first 2 shown]
	v_fma_f64 v[170:171], v[156:157], s[0:1], -v[72:73]
	v_fmac_f64_e32 v[72:73], s[0:1], v[156:157]
	s_mov_b32 s9, 0x3feca52d
	s_mov_b32 s10, 0x2b2883cd
	v_add_f64 v[56:57], v[72:73], v[56:57]
	v_mul_f64 v[72:73], v[158:159], s[8:9]
	s_mov_b32 s11, 0x3fdc86fa
	v_add_f64 v[60:61], v[170:171], v[60:61]
	v_fma_f64 v[170:171], v[156:157], s[10:11], -v[72:73]
	v_fmac_f64_e32 v[72:73], s[10:11], v[156:157]
	s_mov_b32 s29, 0x3fd71e95
	s_mov_b32 s28, 0x5d8e7cdc
	;; [unrolled: 1-line block ×3, first 2 shown]
	v_add_f64 v[64:65], v[72:73], v[64:65]
	v_mul_f64 v[72:73], v[158:159], s[28:29]
	s_mov_b32 s31, 0x3fedd6d0
	v_mul_f64 v[0:1], v[142:143], s[20:21]
	v_fma_f64 v[158:159], v[156:157], s[30:31], -v[72:73]
	v_fmac_f64_e32 v[72:73], s[30:31], v[156:157]
	v_add_f64 v[8:9], v[72:73], v[8:9]
	v_add_f64 v[72:73], v[252:253], -v[160:161]
	v_add_f64 v[0:1], v[0:1], -v[166:167]
	v_add_f64 v[36:37], v[72:73], v[36:37]
	v_add_f64 v[72:73], v[254:255], -v[162:163]
	v_add_f64 v[0:1], v[0:1], v[48:49]
	v_add_f64 v[48:49], v[94:95], -v[168:169]
	s_mov_b32 s29, 0xbfd71e95
	v_accvgpr_write_b32 a10, v198
	v_add_f64 v[40:41], v[72:73], v[40:41]
	v_add_f64 v[72:73], v[92:93], -v[164:165]
	v_add_f64 v[48:49], v[48:49], v[52:53]
	v_mul_f64 v[52:53], v[144:145], s[28:29]
	v_mul_f64 v[2:3], v[118:119], s[20:21]
	;; [unrolled: 1-line block ×3, first 2 shown]
	v_accvgpr_write_b32 a11, v199
	v_mul_f64 v[198:199], v[54:55], s[20:21]
	v_add_f64 v[44:45], v[72:73], v[44:45]
	v_fma_f64 v[72:73], v[142:143], s[30:31], -v[52:53]
	v_fmac_f64_e32 v[52:53], s[30:31], v[142:143]
	s_mov_b32 s23, 0xbfefdd0d
	s_mov_b32 s22, 0xeb564b22
	;; [unrolled: 1-line block ×3, first 2 shown]
	v_add_f64 v[52:53], v[52:53], v[56:57]
	v_mul_f64 v[56:57], v[144:145], s[22:23]
	s_mov_b32 s21, 0x3fb79ee6
	v_add_f64 v[2:3], v[2:3], -v[150:151]
	v_add_f64 v[4:5], v[4:5], -v[152:153]
	v_add_f64 v[60:61], v[72:73], v[60:61]
	v_fma_f64 v[72:73], v[142:143], s[20:21], -v[56:57]
	v_fmac_f64_e32 v[56:57], s[20:21], v[142:143]
	v_add_f64 v[2:3], v[2:3], v[44:45]
	v_add_f64 v[0:1], v[4:5], v[0:1]
	v_add_f64 v[4:5], v[66:67], -v[154:155]
	v_mul_f64 v[44:45], v[130:131], s[24:25]
	v_add_f64 v[68:69], v[170:171], v[68:69]
	v_add_f64 v[56:57], v[56:57], v[64:65]
	v_mul_f64 v[64:65], v[144:145], s[24:25]
	v_add_f64 v[4:5], v[4:5], v[48:49]
	v_fma_f64 v[48:49], v[118:119], s[26:27], -v[44:45]
	v_fmac_f64_e32 v[44:45], s[26:27], v[118:119]
	s_mov_b32 s25, 0x3fe9895b
	s_mov_b32 s24, s14
	v_add_f64 v[68:69], v[72:73], v[68:69]
	v_fma_f64 v[72:73], v[142:143], s[26:27], -v[64:65]
	v_fmac_f64_e32 v[64:65], s[26:27], v[142:143]
	v_add_f64 v[44:45], v[44:45], v[52:53]
	v_mul_f64 v[52:53], v[130:131], s[24:25]
	s_mov_b32 s24, 0x2a9d6da3
	v_add_f64 v[8:9], v[64:65], v[8:9]
	v_add_f64 v[64:65], v[96:97], -v[146:147]
	v_add_f64 v[48:49], v[48:49], v[60:61]
	v_fma_f64 v[60:61], v[118:119], s[16:17], -v[52:53]
	v_fmac_f64_e32 v[52:53], s[16:17], v[118:119]
	s_mov_b32 s25, 0x3fe58eea
	s_mov_b32 s26, 0x75d4884
	v_add_f64 v[36:37], v[64:65], v[36:37]
	v_add_f64 v[64:65], v[98:99], -v[148:149]
	v_add_f64 v[52:53], v[52:53], v[56:57]
	v_mul_f64 v[56:57], v[130:131], s[24:25]
	s_mov_b32 s27, 0x3fe7a5f6
	v_add_f64 v[40:41], v[64:65], v[40:41]
	v_fma_f64 v[64:65], v[118:119], s[26:27], -v[56:57]
	v_fmac_f64_e32 v[56:57], s[26:27], v[118:119]
	v_add_f64 v[8:9], v[56:57], v[8:9]
	v_add_f64 v[56:57], v[212:213], -v[132:133]
	v_add_f64 v[36:37], v[56:57], v[36:37]
	v_add_f64 v[56:57], v[210:211], -v[134:135]
	;; [unrolled: 2-line block ×5, first 2 shown]
	s_mov_b32 s23, 0x3fefdd0d
	v_add_f64 v[4:5], v[56:57], v[4:5]
	v_mul_f64 v[56:57], v[110:111], s[22:23]
	v_fma_f64 v[66:67], v[104:105], s[20:21], -v[56:57]
	v_fmac_f64_e32 v[56:57], s[20:21], v[104:105]
	v_add_f64 v[44:45], v[56:57], v[44:45]
	v_mul_f64 v[56:57], v[110:111], s[28:29]
	v_add_f64 v[48:49], v[66:67], v[48:49]
	v_fma_f64 v[66:67], v[104:105], s[30:31], -v[56:57]
	v_fmac_f64_e32 v[56:57], s[30:31], v[104:105]
	v_add_f64 v[60:61], v[60:61], v[68:69]
	v_add_f64 v[52:53], v[56:57], v[52:53]
	v_mul_f64 v[56:57], v[110:111], s[14:15]
	v_add_f64 v[60:61], v[66:67], v[60:61]
	v_fma_f64 v[66:67], v[104:105], s[16:17], -v[56:57]
	v_fmac_f64_e32 v[56:57], s[16:17], v[104:105]
	v_add_f64 v[8:9], v[56:57], v[8:9]
	v_add_f64 v[56:57], v[194:195], -v[120:121]
	v_add_f64 v[36:37], v[56:57], v[36:37]
	v_add_f64 v[56:57], v[198:199], -v[122:123]
	;; [unrolled: 2-line block ×3, first 2 shown]
	v_add_f64 v[158:159], v[158:159], v[172:173]
	v_add_f64 v[2:3], v[56:57], v[2:3]
	v_add_f64 v[56:57], v[202:203], -v[126:127]
	v_add_f64 v[72:73], v[72:73], v[158:159]
	v_add_f64 v[0:1], v[56:57], v[0:1]
	v_add_f64 v[56:57], v[200:201], -v[128:129]
	s_mov_b32 s15, 0xbfe58eea
	s_mov_b32 s14, s24
	v_add_f64 v[64:65], v[64:65], v[72:73]
	v_add_f64 v[4:5], v[56:57], v[4:5]
	v_mul_f64 v[56:57], v[102:103], s[14:15]
	v_add_f64 v[64:65], v[66:67], v[64:65]
	v_fma_f64 v[66:67], v[54:55], s[26:27], -v[56:57]
	v_fmac_f64_e32 v[56:57], s[26:27], v[54:55]
	v_add_f64 v[44:45], v[56:57], v[44:45]
	v_mul_f64 v[56:57], v[102:103], s[6:7]
	v_add_f64 v[48:49], v[66:67], v[48:49]
	v_fma_f64 v[66:67], v[54:55], s[12:13], -v[56:57]
	v_fmac_f64_e32 v[56:57], s[12:13], v[54:55]
	;; [unrolled: 5-line block ×3, first 2 shown]
	v_add_f64 v[54:55], v[184:185], -v[106:107]
	v_add_f64 v[36:37], v[54:55], v[36:37]
	v_add_f64 v[54:55], v[180:181], -v[108:109]
	v_add_f64 v[40:41], v[54:55], v[40:41]
	;; [unrolled: 2-line block ×5, first 2 shown]
	v_mul_f64 v[54:55], v[34:35], s[6:7]
	v_add_f64 v[8:9], v[56:57], v[8:9]
	v_fma_f64 v[56:57], v[50:51], s[12:13], -v[54:55]
	v_fmac_f64_e32 v[54:55], s[12:13], v[50:51]
	v_add_f64 v[44:45], v[54:55], v[44:45]
	v_mul_f64 v[54:55], v[34:35], s[24:25]
	s_mov_b32 s3, 0xbfeec746
	v_add_f64 v[48:49], v[56:57], v[48:49]
	v_fma_f64 v[56:57], v[50:51], s[26:27], -v[54:55]
	v_fmac_f64_e32 v[54:55], s[26:27], v[50:51]
	v_mul_f64 v[34:35], v[34:35], s[2:3]
	v_add_f64 v[24:25], v[24:25], -v[46:47]
	v_add_f64 v[16:17], v[16:17], -v[38:39]
	v_accvgpr_read_b32 v253, a1
	v_accvgpr_read_b32 v255, a5
	;; [unrolled: 1-line block ×5, first 2 shown]
	v_add_f64 v[64:65], v[66:67], v[64:65]
	v_accvgpr_read_b32 v185, a13
	v_accvgpr_read_b32 v187, a15
	;; [unrolled: 1-line block ×3, first 2 shown]
	v_add_f64 v[52:53], v[54:55], v[52:53]
	v_fma_f64 v[54:55], v[50:51], s[0:1], -v[34:35]
	v_fmac_f64_e32 v[34:35], s[0:1], v[50:51]
	v_add_f64 v[28:29], v[28:29], -v[62:63]
	v_add_f64 v[2:3], v[24:25], v[2:3]
	v_add_f64 v[20:21], v[20:21], -v[42:43]
	v_add_f64 v[4:5], v[16:17], v[4:5]
	v_mul_f64 v[16:17], v[30:31], s[8:9]
	v_mul_f64 v[24:25], v[30:31], s[2:3]
	;; [unrolled: 1-line block ×3, first 2 shown]
	v_accvgpr_read_b32 v252, a0
	v_accvgpr_read_b32 v254, a4
	;; [unrolled: 1-line block ×8, first 2 shown]
	v_add_f64 v[56:57], v[56:57], v[60:61]
	v_add_f64 v[54:55], v[54:55], v[64:65]
	;; [unrolled: 1-line block ×4, first 2 shown]
	v_add_f64 v[32:33], v[32:33], -v[58:59]
	v_add_f64 v[0:1], v[20:21], v[0:1]
	v_fma_f64 v[20:21], v[26:27], s[10:11], -v[16:17]
	v_fmac_f64_e32 v[16:17], s[10:11], v[26:27]
	v_fma_f64 v[34:35], v[26:27], s[0:1], -v[24:25]
	v_fmac_f64_e32 v[24:25], s[0:1], v[26:27]
	;; [unrolled: 2-line block ×3, first 2 shown]
	v_lshl_add_u32 v26, v90, 7, v91
	v_add_f64 v[32:33], v[32:33], v[40:41]
	v_add_f64 v[20:21], v[20:21], v[48:49]
	;; [unrolled: 1-line block ×7, first 2 shown]
	ds_write2_b64 v26, v[12:13], v[28:29] offset1:1
	ds_write2_b64 v26, v[32:33], v[2:3] offset0:2 offset1:3
	ds_write2_b64 v26, v[0:1], v[4:5] offset0:4 offset1:5
	ds_write2_b64 v26, v[20:21], v[34:35] offset0:6 offset1:7
	ds_write2_b64 v26, v[36:37], v[8:9] offset0:8 offset1:9
	ds_write2_b64 v26, v[24:25], v[16:17] offset0:10 offset1:11
	ds_write2_b64 v26, v[100:101], v[70:71] offset0:12 offset1:13
	ds_write2_b64 v26, v[186:187], v[184:185] offset0:14 offset1:15
	ds_write_b64 v26, v[6:7] offset:128
.LBB0_15:
	s_or_b64 exec, exec, s[18:19]
	s_movk_i32 s0, 0xf1
	v_mul_lo_u16_sdwa v0, v90, s0 dst_sel:DWORD dst_unused:UNUSED_PAD src0_sel:BYTE_0 src1_sel:DWORD
	s_mov_b32 s0, 0xf0f1
	v_mul_u32_u24_sdwa v99, v224, s0 dst_sel:DWORD dst_unused:UNUSED_PAD src0_sel:WORD_0 src1_sel:DWORD
	v_lshrrev_b16_e32 v96, 12, v0
	v_lshrrev_b32_e32 v114, 20, v99
	v_mul_lo_u16_e32 v0, 17, v96
	v_mul_lo_u16_e32 v1, 17, v114
	v_sub_u16_e32 v97, v90, v0
	v_mov_b32_e32 v98, 3
	v_sub_u16_e32 v115, v224, v1
	v_mul_u32_u24_sdwa v0, v97, v98 dst_sel:DWORD dst_unused:UNUSED_PAD src0_sel:BYTE_0 src1_sel:DWORD
	v_mul_u32_u24_e32 v1, 3, v115
	v_mul_u32_u24_sdwa v116, v231, s0 dst_sel:DWORD dst_unused:UNUSED_PAD src0_sel:WORD_0 src1_sel:DWORD
	v_lshlrev_b32_e32 v0, 4, v0
	v_lshlrev_b32_e32 v1, 4, v1
	v_lshrrev_b32_e32 v117, 20, v116
	s_waitcnt lgkmcnt(0)
	s_barrier
	global_load_dwordx4 v[24:27], v0, s[4:5] offset:16
	global_load_dwordx4 v[28:31], v0, s[4:5]
	global_load_dwordx4 v[32:35], v1, s[4:5] offset:32
	global_load_dwordx4 v[36:39], v1, s[4:5] offset:16
	global_load_dwordx4 v[40:43], v0, s[4:5] offset:32
	global_load_dwordx4 v[44:47], v1, s[4:5]
	v_mul_lo_u16_e32 v0, 17, v117
	v_sub_u16_e32 v118, v231, v0
	v_mul_u32_u24_e32 v0, 3, v118
	v_lshlrev_b32_e32 v0, 4, v0
	global_load_dwordx4 v[48:51], v0, s[4:5]
	global_load_dwordx4 v[52:55], v0, s[4:5] offset:16
	global_load_dwordx4 v[56:59], v0, s[4:5] offset:32
	ds_read_b64 v[0:1], v91
	ds_read2_b64 v[60:63], v227 offset0:62 offset1:232
	ds_read2_b64 v[102:105], v226 offset0:82 offset1:252
	;; [unrolled: 1-line block ×4, first 2 shown]
	ds_read_b64 v[2:3], v229
	ds_read_b64 v[4:5], v225
	ds_read_b64 v[8:9], v91 offset:14960
	s_waitcnt lgkmcnt(0)
	s_barrier
	s_movk_i32 s1, 0x79
	s_mov_b32 s2, 0xe8584caa
	s_mov_b32 s3, 0xbfebb67a
	;; [unrolled: 1-line block ×4, first 2 shown]
	s_waitcnt vmcnt(6)
	v_mul_f64 v[68:69], v[108:109], v[34:35]
	v_mul_f64 v[20:21], v[104:105], v[26:27]
	;; [unrolled: 1-line block ×5, first 2 shown]
	s_waitcnt vmcnt(4)
	v_mul_f64 v[30:31], v[106:107], v[42:43]
	s_waitcnt vmcnt(3)
	v_mul_f64 v[64:65], v[62:63], v[46:47]
	v_mul_f64 v[66:67], v[110:111], v[38:39]
	;; [unrolled: 1-line block ×3, first 2 shown]
	s_waitcnt vmcnt(0)
	v_mul_f64 v[94:95], v[8:9], v[58:59]
	v_fmac_f64_e32 v[12:13], v[78:79], v[28:29]
	v_fmac_f64_e32 v[20:21], v[76:77], v[24:25]
	v_fma_f64 v[24:25], v[104:105], v[24:25], -v[26:27]
	v_fmac_f64_e32 v[30:31], v[82:83], v[40:41]
	v_mul_f64 v[42:43], v[82:83], v[42:43]
	v_mul_f64 v[34:35], v[84:85], v[34:35]
	;; [unrolled: 1-line block ×7, first 2 shown]
	v_fmac_f64_e32 v[64:65], v[80:81], v[44:45]
	v_fmac_f64_e32 v[66:67], v[86:87], v[36:37]
	v_fma_f64 v[36:37], v[110:111], v[36:37], -v[38:39]
	v_fmac_f64_e32 v[68:69], v[84:85], v[32:33]
	v_fmac_f64_e32 v[94:95], v[22:23], v[56:57]
	v_add_f64 v[22:23], v[0:1], -v[24:25]
	v_add_f64 v[24:25], v[12:13], -v[30:31]
	v_mul_f64 v[46:47], v[80:81], v[46:47]
	v_fma_f64 v[16:17], v[60:61], v[28:29], -v[16:17]
	v_fma_f64 v[26:27], v[106:107], v[40:41], -v[42:43]
	;; [unrolled: 1-line block ×6, first 2 shown]
	v_fma_f64 v[12:13], v[12:13], 2.0, -v[24:25]
	v_add_f64 v[30:31], v[22:23], -v[24:25]
	v_add_f64 v[24:25], v[4:5], -v[36:37]
	v_add_f64 v[36:37], v[64:65], -v[68:69]
	v_fma_f64 v[28:29], v[62:63], v[44:45], -v[46:47]
	v_add_f64 v[20:21], v[18:19], -v[20:21]
	v_add_f64 v[26:27], v[16:17], -v[26:27]
	v_fma_f64 v[42:43], v[64:65], 2.0, -v[36:37]
	v_add_f64 v[44:45], v[24:25], -v[36:37]
	v_add_f64 v[36:37], v[2:3], -v[38:39]
	;; [unrolled: 1-line block ×3, first 2 shown]
	v_fma_f64 v[18:19], v[18:19], 2.0, -v[20:21]
	v_fma_f64 v[0:1], v[0:1], 2.0, -v[22:23]
	v_fma_f64 v[16:17], v[16:17], 2.0, -v[26:27]
	v_add_f64 v[26:27], v[20:21], v[26:27]
	v_fma_f64 v[2:3], v[2:3], 2.0, -v[36:37]
	v_fma_f64 v[34:35], v[34:35], 2.0, -v[8:9]
	v_add_f64 v[12:13], v[18:19], -v[12:13]
	v_add_f64 v[40:41], v[0:1], -v[16:17]
	v_fma_f64 v[16:17], v[20:21], 2.0, -v[26:27]
	v_fma_f64 v[20:21], v[22:23], 2.0, -v[30:31]
	v_add_f64 v[22:23], v[14:15], -v[66:67]
	v_add_f64 v[50:51], v[2:3], -v[34:35]
	v_mul_u32_u24_e32 v34, 0x220, v96
	v_lshlrev_b32_sdwa v35, v98, v97 dst_sel:DWORD dst_unused:UNUSED_PAD src0_sel:DWORD src1_sel:BYTE_0
	v_fmac_f64_e32 v[72:73], v[74:75], v[48:49]
	v_fmac_f64_e32 v[92:93], v[88:89], v[52:53]
	v_fma_f64 v[18:19], v[18:19], 2.0, -v[12:13]
	v_fma_f64 v[14:15], v[14:15], 2.0, -v[22:23]
	v_add_f64 v[32:33], v[28:29], -v[32:33]
	v_add3_u32 v56, 0, v34, v35
	v_fma_f64 v[4:5], v[4:5], 2.0, -v[24:25]
	v_fma_f64 v[28:29], v[28:29], 2.0, -v[32:33]
	v_add_f64 v[42:43], v[14:15], -v[42:43]
	v_add_f64 v[32:33], v[22:23], v[32:33]
	v_fma_f64 v[46:47], v[24:25], 2.0, -v[44:45]
	v_add_f64 v[24:25], v[10:11], -v[92:93]
	v_add_f64 v[38:39], v[72:73], -v[94:95]
	ds_write2_b64 v56, v[18:19], v[16:17] offset1:17
	ds_write2_b64 v56, v[12:13], v[26:27] offset0:34 offset1:51
	v_mul_u32_u24_e32 v12, 0x220, v114
	v_lshlrev_b32_e32 v13, 3, v115
	v_fma_f64 v[14:15], v[14:15], 2.0, -v[42:43]
	v_fma_f64 v[22:23], v[22:23], 2.0, -v[32:33]
	;; [unrolled: 1-line block ×4, first 2 shown]
	v_add3_u32 v12, 0, v12, v13
	v_add_f64 v[48:49], v[10:11], -v[48:49]
	v_add_f64 v[8:9], v[24:25], v[8:9]
	ds_write2_b64 v12, v[14:15], v[22:23] offset1:17
	ds_write2_b64 v12, v[42:43], v[32:33] offset0:34 offset1:51
	v_mul_u32_u24_e32 v13, 0x220, v117
	v_lshlrev_b32_e32 v14, 3, v118
	v_fma_f64 v[0:1], v[0:1], 2.0, -v[40:41]
	v_add_f64 v[28:29], v[4:5], -v[28:29]
	v_fma_f64 v[10:11], v[10:11], 2.0, -v[48:49]
	v_add_f64 v[52:53], v[36:37], -v[38:39]
	v_fma_f64 v[24:25], v[24:25], 2.0, -v[8:9]
	v_add3_u32 v13, 0, v13, v14
	v_fma_f64 v[4:5], v[4:5], 2.0, -v[28:29]
	v_fma_f64 v[2:3], v[2:3], 2.0, -v[50:51]
	;; [unrolled: 1-line block ×3, first 2 shown]
	ds_write2_b64 v13, v[10:11], v[24:25] offset1:17
	ds_write2_b64 v13, v[48:49], v[8:9] offset0:34 offset1:51
	s_waitcnt lgkmcnt(0)
	s_barrier
	ds_read_b64 v[18:19], v91
	ds_read2_b64 v[8:11], v227 offset0:62 offset1:232
	ds_read2_b64 v[24:27], v230 offset0:38 offset1:208
	;; [unrolled: 1-line block ×4, first 2 shown]
	ds_read_b64 v[16:17], v229
	ds_read_b64 v[66:67], v225
	ds_read_b64 v[68:69], v91 offset:14960
	s_waitcnt lgkmcnt(0)
	s_barrier
	ds_write2_b64 v56, v[0:1], v[20:21] offset1:17
	ds_write2_b64 v56, v[40:41], v[30:31] offset0:34 offset1:51
	ds_write2_b64 v12, v[4:5], v[46:47] offset1:17
	ds_write2_b64 v12, v[28:29], v[44:45] offset0:34 offset1:51
	;; [unrolled: 2-line block ×3, first 2 shown]
	v_mul_lo_u16_sdwa v0, v90, s1 dst_sel:DWORD dst_unused:UNUSED_PAD src0_sel:BYTE_0 src1_sel:DWORD
	v_lshrrev_b16_e32 v92, 13, v0
	v_mul_lo_u16_e32 v0, 0x44, v92
	v_sub_u16_e32 v93, v90, v0
	v_mov_b32_e32 v0, 5
	v_lshlrev_b32_sdwa v0, v0, v93 dst_sel:DWORD dst_unused:UNUSED_PAD src0_sel:DWORD src1_sel:BYTE_0
	v_lshrrev_b32_e32 v94, 22, v99
	s_waitcnt lgkmcnt(0)
	s_barrier
	global_load_dwordx4 v[40:43], v0, s[4:5] offset:816
	global_load_dwordx4 v[44:47], v0, s[4:5] offset:832
	v_mul_lo_u16_e32 v0, 0x44, v94
	v_sub_u16_e32 v95, v224, v0
	v_lshlrev_b32_e32 v0, 5, v95
	v_lshrrev_b32_e32 v96, 22, v116
	global_load_dwordx4 v[50:53], v0, s[4:5] offset:816
	global_load_dwordx4 v[62:65], v0, s[4:5] offset:832
	v_mul_lo_u16_e32 v0, 0x44, v96
	v_sub_u16_e32 v97, v231, v0
	v_lshlrev_b32_e32 v0, 5, v97
	global_load_dwordx4 v[78:81], v0, s[4:5] offset:816
	global_load_dwordx4 v[82:85], v0, s[4:5] offset:832
	v_add_u32_e32 v0, 0x1fe, v90
	v_mul_u32_u24_sdwa v1, v0, s0 dst_sel:DWORD dst_unused:UNUSED_PAD src0_sel:WORD_0 src1_sel:DWORD
	v_lshrrev_b32_e32 v99, 22, v1
	v_mul_lo_u16_e32 v1, 0x44, v99
	v_sub_u16_e32 v114, v0, v1
	v_lshlrev_b32_e32 v0, 5, v114
	global_load_dwordx4 v[86:89], v0, s[4:5] offset:816
	global_load_dwordx4 v[102:105], v0, s[4:5] offset:832
	ds_read_b64 v[20:21], v91
	ds_read2_b64 v[12:15], v227 offset0:62 offset1:232
	ds_read2_b64 v[106:109], v230 offset0:38 offset1:208
	;; [unrolled: 1-line block ×4, first 2 shown]
	ds_read_b64 v[22:23], v229
	ds_read_b64 v[28:29], v225
	ds_read_b64 v[0:1], v91 offset:14960
	s_mov_b32 s1, 0x5040100
	s_waitcnt lgkmcnt(0)
	s_barrier
	s_movk_i32 s0, 0x660
	s_waitcnt vmcnt(7)
	v_mul_f64 v[2:3], v[10:11], v[42:43]
	v_fma_f64 v[60:61], v[14:15], v[40:41], -v[2:3]
	s_waitcnt vmcnt(6)
	v_mul_f64 v[2:3], v[26:27], v[46:47]
	v_fma_f64 v[76:77], v[108:109], v[44:45], -v[2:3]
	v_mul_f64 v[48:49], v[14:15], v[42:43]
	s_waitcnt vmcnt(5)
	v_mul_f64 v[2:3], v[32:33], v[52:53]
	v_fma_f64 v[58:59], v[72:73], v[50:51], -v[2:3]
	s_waitcnt vmcnt(4)
	v_mul_f64 v[2:3], v[36:37], v[64:65]
	v_mul_f64 v[30:31], v[72:73], v[52:53]
	v_fma_f64 v[72:73], v[110:111], v[62:63], -v[2:3]
	s_waitcnt vmcnt(3)
	v_mul_f64 v[2:3], v[34:35], v[80:81]
	v_mul_f64 v[52:53], v[110:111], v[64:65]
	v_fma_f64 v[56:57], v[74:75], v[78:79], -v[2:3]
	s_waitcnt vmcnt(2)
	v_mul_f64 v[2:3], v[38:39], v[84:85]
	v_mul_f64 v[54:55], v[108:109], v[46:47]
	v_fmac_f64_e32 v[52:53], v[36:37], v[62:63]
	v_fma_f64 v[62:63], v[112:113], v[82:83], -v[2:3]
	s_waitcnt vmcnt(1)
	v_mul_f64 v[2:3], v[24:25], v[88:89]
	v_fmac_f64_e32 v[48:49], v[10:11], v[40:41]
	v_fmac_f64_e32 v[54:55], v[26:27], v[44:45]
	;; [unrolled: 1-line block ×3, first 2 shown]
	v_mul_f64 v[14:15], v[74:75], v[80:81]
	v_mul_f64 v[50:51], v[112:113], v[84:85]
	v_fma_f64 v[80:81], v[106:107], v[86:87], -v[2:3]
	s_waitcnt vmcnt(0)
	v_mul_f64 v[2:3], v[68:69], v[104:105]
	v_fmac_f64_e32 v[50:51], v[38:39], v[82:83]
	v_fma_f64 v[82:83], v[0:1], v[102:103], -v[2:3]
	v_add_f64 v[2:3], v[48:49], v[54:55]
	v_fmac_f64_e32 v[14:15], v[34:35], v[78:79]
	v_mul_f64 v[74:75], v[106:107], v[88:89]
	v_mul_f64 v[78:79], v[0:1], v[104:105]
	v_add_f64 v[0:1], v[18:19], v[48:49]
	v_fmac_f64_e32 v[18:19], -0.5, v[2:3]
	v_add_f64 v[2:3], v[60:61], -v[76:77]
	v_add_f64 v[10:11], v[30:31], v[52:53]
	v_fmac_f64_e32 v[74:75], v[24:25], v[86:87]
	v_fmac_f64_e32 v[78:79], v[68:69], v[102:103]
	v_fma_f64 v[4:5], s[2:3], v[2:3], v[18:19]
	v_fmac_f64_e32 v[18:19], s[6:7], v[2:3]
	v_add_f64 v[2:3], v[66:67], v[30:31]
	v_fmac_f64_e32 v[66:67], -0.5, v[10:11]
	v_add_f64 v[10:11], v[58:59], -v[72:73]
	v_add_f64 v[26:27], v[14:15], v[50:51]
	v_fma_f64 v[24:25], s[2:3], v[10:11], v[66:67]
	v_fmac_f64_e32 v[66:67], s[6:7], v[10:11]
	v_add_f64 v[10:11], v[16:17], v[14:15]
	v_fmac_f64_e32 v[16:17], -0.5, v[26:27]
	v_add_f64 v[26:27], v[56:57], -v[62:63]
	v_add_f64 v[34:35], v[74:75], v[78:79]
	v_fma_f64 v[32:33], s[2:3], v[26:27], v[16:17]
	v_fmac_f64_e32 v[16:17], s[6:7], v[26:27]
	v_add_f64 v[26:27], v[8:9], v[74:75]
	v_fmac_f64_e32 v[8:9], -0.5, v[34:35]
	v_add_f64 v[34:35], v[80:81], -v[82:83]
	v_fma_f64 v[64:65], s[2:3], v[34:35], v[8:9]
	v_fmac_f64_e32 v[8:9], s[6:7], v[34:35]
	v_mul_u32_u24_e32 v34, 0x660, v92
	v_lshlrev_b32_sdwa v35, v98, v93 dst_sel:DWORD dst_unused:UNUSED_PAD src0_sel:DWORD src1_sel:BYTE_0
	v_add_f64 v[0:1], v[0:1], v[54:55]
	v_add3_u32 v84, 0, v34, v35
	ds_write2_b64 v84, v[0:1], v[4:5] offset1:68
	ds_write_b64 v84, v[18:19] offset:1088
	v_perm_b32 v0, v96, v94, s1
	v_pk_mul_lo_u16 v0, v0, s0 op_sel_hi:[1,0]
	v_lshlrev_b32_e32 v4, 3, v95
	v_and_b32_e32 v1, 0xffe0, v0
	v_add3_u32 v85, 0, v1, v4
	v_lshrrev_b32_e32 v0, 16, v0
	v_lshlrev_b32_e32 v1, 3, v97
	v_add3_u32 v86, 0, v0, v1
	v_mul_u32_u24_e32 v0, 0x660, v99
	v_lshlrev_b32_e32 v1, 3, v114
	v_add_f64 v[2:3], v[2:3], v[52:53]
	v_add_f64 v[10:11], v[10:11], v[50:51]
	;; [unrolled: 1-line block ×3, first 2 shown]
	v_add3_u32 v87, 0, v0, v1
	v_add_u32_e32 v88, 0xc00, v91
	v_add_u32_e32 v89, 0x2600, v91
	;; [unrolled: 1-line block ×3, first 2 shown]
	ds_write2_b64 v85, v[2:3], v[24:25] offset1:68
	ds_write_b64 v85, v[66:67] offset:1088
	ds_write2_b64 v86, v[10:11], v[32:33] offset1:68
	ds_write_b64 v86, v[16:17] offset:1088
	;; [unrolled: 2-line block ×3, first 2 shown]
	s_waitcnt lgkmcnt(0)
	s_barrier
	ds_read2_b64 v[24:27], v91 offset1:204
	ds_read2_b64 v[36:39], v88 offset0:24 offset1:228
	ds_read2_b64 v[32:35], v226 offset0:48 offset1:252
	;; [unrolled: 1-line block ×4, first 2 shown]
	v_cmp_gt_u32_e64 s[0:1], 34, v90
                                        ; implicit-def: $vgpr68_vgpr69
                                        ; implicit-def: $vgpr18_vgpr19
	s_and_saveexec_b64 s[8:9], s[0:1]
	s_cbranch_execz .LBB0_17
; %bb.16:
	v_add_u32_e32 v0, 0xb00, v91
	ds_read2_b64 v[8:11], v0 offset0:22 offset1:226
	v_add_u32_e32 v0, 0x1800, v91
	ds_read2_b64 v[96:99], v0 offset0:14 offset1:218
	;; [unrolled: 2-line block ×4, first 2 shown]
	ds_read_b64 v[64:65], v225
	ds_read_b64 v[68:69], v91 offset:16048
	s_waitcnt lgkmcnt(4)
	v_mov_b64_e32 v[194:195], v[98:99]
	v_mov_b64_e32 v[196:197], v[96:97]
	s_waitcnt lgkmcnt(3)
	v_mov_b64_e32 v[254:255], v[190:191]
	v_mov_b64_e32 v[198:199], v[10:11]
.LBB0_17:
	s_or_b64 exec, exec, s[8:9]
	v_add_f64 v[2:3], v[60:61], v[76:77]
	v_add_f64 v[0:1], v[20:21], v[60:61]
	v_fmac_f64_e32 v[20:21], -0.5, v[2:3]
	v_add_f64 v[2:3], v[48:49], -v[54:55]
	v_add_f64 v[10:11], v[58:59], v[72:73]
	v_fma_f64 v[4:5], s[6:7], v[2:3], v[20:21]
	v_fmac_f64_e32 v[20:21], s[2:3], v[2:3]
	v_add_f64 v[2:3], v[28:29], v[58:59]
	v_fmac_f64_e32 v[28:29], -0.5, v[10:11]
	v_add_f64 v[10:11], v[30:31], -v[52:53]
	v_fma_f64 v[30:31], s[6:7], v[10:11], v[28:29]
	v_fmac_f64_e32 v[28:29], s[2:3], v[10:11]
	v_add_f64 v[10:11], v[22:23], v[56:57]
	v_add_f64 v[48:49], v[10:11], v[62:63]
	;; [unrolled: 1-line block ×3, first 2 shown]
	v_fmac_f64_e32 v[22:23], -0.5, v[10:11]
	v_add_f64 v[10:11], v[14:15], -v[50:51]
	v_fma_f64 v[14:15], s[6:7], v[10:11], v[22:23]
	v_fmac_f64_e32 v[22:23], s[2:3], v[10:11]
	v_add_f64 v[10:11], v[12:13], v[80:81]
	v_add_f64 v[50:51], v[10:11], v[82:83]
	;; [unrolled: 1-line block ×4, first 2 shown]
	v_fmac_f64_e32 v[12:13], -0.5, v[10:11]
	v_add_f64 v[52:53], v[74:75], -v[78:79]
	v_add_f64 v[2:3], v[2:3], v[72:73]
	v_fma_f64 v[10:11], s[6:7], v[52:53], v[12:13]
	v_fmac_f64_e32 v[12:13], s[2:3], v[52:53]
	s_waitcnt lgkmcnt(0)
	s_barrier
	ds_write2_b64 v84, v[0:1], v[4:5] offset1:68
	ds_write_b64 v84, v[20:21] offset:1088
	ds_write2_b64 v85, v[2:3], v[30:31] offset1:68
	ds_write_b64 v85, v[28:29] offset:1088
	ds_write2_b64 v86, v[48:49], v[14:15] offset1:68
	ds_write_b64 v86, v[22:23] offset:1088
	ds_write2_b64 v87, v[50:51], v[10:11] offset1:68
	ds_write_b64 v87, v[12:13] offset:1088
	v_add_u32_e32 v20, 0x1800, v91
	s_waitcnt lgkmcnt(0)
	s_barrier
	ds_read2_b64 v[28:31], v91 offset1:204
	ds_read2_b64 v[48:51], v88 offset0:24 offset1:228
	ds_read2_b64 v[56:59], v20 offset0:48 offset1:252
	ds_read2_b64 v[60:63], v89 offset0:8 offset1:212
	ds_read2_b64 v[52:55], v102 offset0:32 offset1:236
                                        ; implicit-def: $vgpr72_vgpr73
                                        ; implicit-def: $vgpr22_vgpr23
	s_and_saveexec_b64 s[2:3], s[0:1]
	s_cbranch_execz .LBB0_19
; %bb.18:
	v_add_u32_e32 v0, 0xb00, v91
	ds_read2_b64 v[12:15], v0 offset0:22 offset1:226
	ds_read2_b64 v[74:77], v20 offset0:14 offset1:218
	v_add_u32_e32 v0, 0x2400, v91
	ds_read2_b64 v[4:7], v0 offset0:38 offset1:242
	v_add_u32_e32 v0, 0x3100, v91
	ds_read2_b64 v[20:23], v0 offset0:30 offset1:234
	ds_read_b64 v[10:11], v225
	ds_read_b64 v[72:73], v91 offset:16048
	s_waitcnt lgkmcnt(4)
	v_mov_b64_e32 v[186:187], v[76:77]
	v_mov_b64_e32 v[70:71], v[74:75]
	s_waitcnt lgkmcnt(3)
	v_mov_b64_e32 v[184:185], v[4:5]
	v_mov_b64_e32 v[100:101], v[14:15]
.LBB0_19:
	s_or_b64 exec, exec, s[2:3]
	s_and_saveexec_b64 s[2:3], vcc
	s_cbranch_execz .LBB0_22
; %bb.20:
	v_mul_u32_u24_e32 v0, 9, v90
	v_lshlrev_b32_e32 v0, 4, v0
	global_load_dwordx4 v[74:77], v0, s[4:5] offset:3008
	global_load_dwordx4 v[78:81], v0, s[4:5] offset:3040
	;; [unrolled: 1-line block ×9, first 2 shown]
	s_mov_b32 s8, 0x134454ff
	s_mov_b32 s9, 0xbfee6f0e
	;; [unrolled: 1-line block ×14, first 2 shown]
	v_mov_b32_e32 v91, 0
	s_movk_i32 s20, 0x1000
	s_mov_b32 s17, 0xbfd3c6ef
	s_mov_b32 s16, s2
	s_waitcnt vmcnt(8)
	v_mul_f64 v[0:1], v[36:37], v[76:77]
	s_waitcnt vmcnt(7)
	v_mul_f64 v[2:3], v[32:33], v[80:81]
	;; [unrolled: 2-line block ×4, first 2 shown]
	s_waitcnt lgkmcnt(3)
	v_mul_f64 v[66:67], v[48:49], v[76:77]
	s_waitcnt lgkmcnt(0)
	v_mul_f64 v[76:77], v[52:53], v[84:85]
	v_mul_f64 v[84:85], v[60:61], v[88:89]
	s_waitcnt vmcnt(4)
	v_mul_f64 v[88:89], v[38:39], v[102:103]
	s_waitcnt vmcnt(3)
	;; [unrolled: 2-line block ×4, first 2 shown]
	v_mul_f64 v[96:97], v[42:43], v[114:115]
	v_mul_f64 v[80:81], v[56:57], v[80:81]
	;; [unrolled: 1-line block ×4, first 2 shown]
	s_waitcnt vmcnt(0)
	v_mul_f64 v[98:99], v[26:27], v[118:119]
	v_mul_f64 v[38:39], v[38:39], v[104:105]
	;; [unrolled: 1-line block ×3, first 2 shown]
	v_fma_f64 v[0:1], v[48:49], v[74:75], -v[0:1]
	v_fma_f64 v[2:3], v[56:57], v[78:79], -v[2:3]
	v_fma_f64 v[4:5], v[52:53], v[82:83], -v[4:5]
	v_fma_f64 v[14:15], v[60:61], v[86:87], -v[14:15]
	v_fmac_f64_e32 v[88:89], v[50:51], v[104:105]
	v_fmac_f64_e32 v[92:93], v[58:59], v[108:109]
	;; [unrolled: 1-line block ×8, first 2 shown]
	v_fma_f64 v[32:33], v[58:59], v[106:107], -v[34:35]
	v_fma_f64 v[34:35], v[62:63], v[114:115], -v[42:43]
	v_fmac_f64_e32 v[98:99], v[30:31], v[120:121]
	v_fma_f64 v[36:37], v[50:51], v[102:103], -v[38:39]
	v_fma_f64 v[26:27], v[30:31], v[118:119], -v[26:27]
	v_add_f64 v[30:31], v[0:1], -v[2:3]
	v_add_f64 v[40:41], v[4:5], -v[14:15]
	v_add_f64 v[42:43], v[2:3], v[14:15]
	v_add_f64 v[44:45], v[88:89], -v[92:93]
	v_add_f64 v[50:51], v[94:95], -v[96:97]
	v_add_f64 v[82:83], v[30:31], v[40:41]
	v_fma_f64 v[86:87], -0.5, v[42:43], v[28:29]
	v_add_f64 v[42:43], v[44:45], v[50:51]
	v_add_f64 v[40:41], v[2:3], -v[0:1]
	v_add_f64 v[44:45], v[14:15], -v[4:5]
	v_mul_f64 v[46:47], v[46:47], v[112:113]
	v_add_f64 v[44:45], v[40:41], v[44:45]
	v_add_f64 v[40:41], v[0:1], v[4:5]
	v_fma_f64 v[38:39], v[54:55], v[110:111], -v[46:47]
	v_fma_f64 v[106:107], -0.5, v[40:41], v[28:29]
	v_add_f64 v[40:41], v[92:93], -v[88:89]
	v_add_f64 v[110:111], v[96:97], -v[94:95]
	v_add_f64 v[110:111], v[40:41], v[110:111]
	v_add_f64 v[40:41], v[88:89], v[94:95]
	v_fma_f64 v[112:113], -0.5, v[40:41], v[98:99]
	v_add_f64 v[40:41], v[32:33], -v[36:37]
	v_add_f64 v[116:117], v[34:35], -v[38:39]
	v_add_f64 v[54:55], v[92:93], v[96:97]
	v_add_f64 v[58:59], v[36:37], -v[32:33]
	v_add_f64 v[60:61], v[38:39], -v[34:35]
	v_add_f64 v[62:63], v[32:33], v[34:35]
	v_add_f64 v[116:117], v[40:41], v[116:117]
	;; [unrolled: 1-line block ×3, first 2 shown]
	v_add_f64 v[74:75], v[88:89], -v[94:95]
	v_fma_f64 v[50:51], -0.5, v[54:55], v[98:99]
	v_add_f64 v[54:55], v[58:59], v[60:61]
	v_fma_f64 v[58:59], -0.5, v[62:63], v[26:27]
	v_fma_f64 v[118:119], -0.5, v[40:41], v[26:27]
	v_add_f64 v[28:29], v[28:29], v[0:1]
	v_add_f64 v[26:27], v[36:37], v[26:27]
	v_add_f64 v[56:57], v[36:37], -v[38:39]
	v_add_f64 v[78:79], v[92:93], -v[96:97]
	v_fma_f64 v[102:103], s[8:9], v[74:75], v[58:59]
	v_add_f64 v[28:29], v[28:29], v[2:3]
	v_add_f64 v[26:27], v[32:33], v[26:27]
	v_add_f64 v[52:53], v[32:33], -v[34:35]
	v_fma_f64 v[62:63], s[12:13], v[56:57], v[50:51]
	v_fmac_f64_e32 v[102:103], s[6:7], v[78:79]
	v_fma_f64 v[120:121], s[12:13], v[78:79], v[118:119]
	v_fmac_f64_e32 v[118:119], s[8:9], v[78:79]
	v_add_f64 v[28:29], v[28:29], v[14:15]
	v_add_f64 v[26:27], v[34:35], v[26:27]
	v_add_f64 v[46:47], v[66:67], -v[76:77]
	v_fmac_f64_e32 v[62:63], s[10:11], v[52:53]
	v_fmac_f64_e32 v[102:103], s[2:3], v[54:55]
	;; [unrolled: 1-line block ×5, first 2 shown]
	v_add_f64 v[74:75], v[4:5], v[28:29]
	v_add_f64 v[32:33], v[38:39], v[26:27]
	v_add_f64 v[0:1], v[0:1], -v[4:5]
	v_add_f64 v[4:5], v[80:81], v[84:85]
	v_add_f64 v[34:35], v[80:81], -v[66:67]
	v_add_f64 v[38:39], v[84:85], -v[76:77]
	;; [unrolled: 1-line block ×3, first 2 shown]
	v_fma_f64 v[60:61], s[8:9], v[46:47], v[86:87]
	v_fmac_f64_e32 v[62:63], s[2:3], v[42:43]
	v_mul_f64 v[104:105], v[102:103], s[14:15]
	v_fmac_f64_e32 v[86:87], s[12:13], v[46:47]
	v_fmac_f64_e32 v[58:59], s[10:11], v[78:79]
	v_fma_f64 v[4:5], -0.5, v[4:5], v[24:25]
	v_mul_f64 v[78:79], v[102:103], s[6:7]
	v_add_f64 v[34:35], v[34:35], v[38:39]
	v_add_f64 v[38:39], v[66:67], v[76:77]
	v_fmac_f64_e32 v[60:61], s[6:7], v[48:49]
	v_fmac_f64_e32 v[104:105], s[10:11], v[62:63]
	;; [unrolled: 1-line block ×3, first 2 shown]
	v_add_f64 v[2:3], v[2:3], -v[14:15]
	v_fma_f64 v[14:15], s[12:13], v[0:1], v[4:5]
	v_fmac_f64_e32 v[78:79], s[14:15], v[62:63]
	v_fma_f64 v[62:63], -0.5, v[38:39], v[24:25]
	v_fmac_f64_e32 v[4:5], s[8:9], v[0:1]
	v_fmac_f64_e32 v[60:61], s[2:3], v[82:83]
	;; [unrolled: 1-line block ×5, first 2 shown]
	v_fma_f64 v[82:83], s[8:9], v[2:3], v[62:63]
	v_fmac_f64_e32 v[62:63], s[12:13], v[2:3]
	v_fmac_f64_e32 v[4:5], s[6:7], v[2:3]
	v_add_f64 v[2:3], v[24:25], v[66:67]
	v_add_f64 v[24:25], v[88:89], v[98:99]
	v_fmac_f64_e32 v[50:51], s[6:7], v[52:53]
	v_fmac_f64_e32 v[58:59], s[2:3], v[54:55]
	v_add_f64 v[26:27], v[66:67], -v[80:81]
	v_add_f64 v[28:29], v[76:77], -v[84:85]
	v_add_f64 v[2:3], v[2:3], v[80:81]
	v_add_f64 v[24:25], v[92:93], v[24:25]
	v_fmac_f64_e32 v[50:51], s[2:3], v[42:43]
	v_add_f64 v[26:27], v[26:27], v[28:29]
	v_fmac_f64_e32 v[82:83], s[10:11], v[0:1]
	v_fmac_f64_e32 v[62:63], s[6:7], v[0:1]
	v_mul_f64 v[0:1], v[58:59], s[6:7]
	v_add_f64 v[2:3], v[2:3], v[84:85]
	v_add_f64 v[24:25], v[96:97], v[24:25]
	v_mul_f64 v[54:55], v[58:59], s[18:19]
	v_fmac_f64_e32 v[14:15], s[2:3], v[26:27]
	v_fmac_f64_e32 v[4:5], s[2:3], v[26:27]
	;; [unrolled: 1-line block ×3, first 2 shown]
	v_add_f64 v[2:3], v[76:77], v[2:3]
	v_add_f64 v[66:67], v[94:95], v[24:25]
	v_fmac_f64_e32 v[54:55], s[10:11], v[50:51]
	v_add_f64 v[36:37], v[74:75], -v[32:33]
	v_add_f64 v[28:29], v[14:15], -v[78:79]
	v_add_f64 v[76:77], v[74:75], v[32:33]
	v_add_f64 v[50:51], v[14:15], v[78:79]
	;; [unrolled: 1-line block ×4, first 2 shown]
	v_lshl_add_u64 v[14:15], v[90:91], 4, v[252:253]
	v_fma_f64 v[114:115], s[8:9], v[52:53], v[112:113]
	v_add_f64 v[26:27], v[86:87], v[54:55]
	global_store_dwordx4 v[14:15], v[74:77], off
	global_store_dwordx4 v[14:15], v[24:27], off offset:3264
	v_fmac_f64_e32 v[114:115], s[10:11], v[56:57]
	v_fmac_f64_e32 v[120:121], s[2:3], v[116:117]
	v_add_co_u32_e32 v24, vcc, s20, v14
	v_fmac_f64_e32 v[112:113], s[12:13], v[52:53]
	s_nop 0
	v_addc_co_u32_e32 v25, vcc, 0, v15, vcc
	s_movk_i32 s20, 0x2000
	v_fma_f64 v[108:109], s[12:13], v[48:49], v[106:107]
	v_fmac_f64_e32 v[114:115], s[2:3], v[110:111]
	v_mul_f64 v[122:123], v[120:121], s[16:17]
	v_fmac_f64_e32 v[106:107], s[8:9], v[48:49]
	v_fmac_f64_e32 v[112:113], s[6:7], v[56:57]
	;; [unrolled: 1-line block ×3, first 2 shown]
	v_mul_f64 v[102:103], v[120:121], s[8:9]
	v_add_co_u32_e32 v26, vcc, s20, v14
	v_fmac_f64_e32 v[108:109], s[6:7], v[46:47]
	v_fmac_f64_e32 v[122:123], s[12:13], v[114:115]
	v_fmac_f64_e32 v[106:107], s[10:11], v[46:47]
	v_fmac_f64_e32 v[112:113], s[2:3], v[110:111]
	v_mul_f64 v[110:111], v[118:119], s[2:3]
	v_fmac_f64_e32 v[102:103], s[16:17], v[114:115]
	v_mul_f64 v[114:115], v[118:119], s[8:9]
	v_addc_co_u32_e32 v27, vcc, 0, v15, vcc
	s_movk_i32 s20, 0x3000
	v_fmac_f64_e32 v[108:109], s[2:3], v[44:45]
	v_fmac_f64_e32 v[106:107], s[2:3], v[44:45]
	v_fmac_f64_e32 v[110:111], s[12:13], v[112:113]
	v_fmac_f64_e32 v[82:83], s[2:3], v[34:35]
	v_fmac_f64_e32 v[62:63], s[2:3], v[34:35]
	v_fmac_f64_e32 v[114:115], s[2:3], v[112:113]
	v_add_co_u32_e32 v32, vcc, s20, v14
	v_add_f64 v[30:31], v[60:61], -v[104:105]
	v_add_f64 v[48:49], v[86:87], -v[54:55]
	;; [unrolled: 1-line block ×3, first 2 shown]
	v_add_f64 v[52:53], v[60:61], v[104:105]
	v_add_f64 v[56:57], v[108:109], v[122:123]
	;; [unrolled: 1-line block ×5, first 2 shown]
	v_addc_co_u32_e32 v33, vcc, 0, v15, vcc
	s_movk_i32 s20, 0x4000
	global_store_dwordx4 v[24:25], v[58:61], off offset:2432
	global_store_dwordx4 v[26:27], v[54:57], off offset:1600
	;; [unrolled: 1-line block ×4, first 2 shown]
	v_add_f64 v[46:47], v[4:5], -v[0:1]
	v_add_f64 v[40:41], v[108:109], -v[122:123]
	v_add_co_u32_e32 v34, vcc, s20, v14
	s_movk_i32 s20, 0x5000
	s_nop 0
	v_addc_co_u32_e32 v35, vcc, 0, v15, vcc
	v_add_co_u32_e32 v36, vcc, s20, v14
	v_add_f64 v[38:39], v[82:83], -v[102:103]
	s_nop 0
	v_addc_co_u32_e32 v37, vcc, 0, v15, vcc
	v_add_co_u32_e32 v0, vcc, 0x6000, v14
	v_add_f64 v[44:45], v[106:107], -v[110:111]
	s_nop 0
	v_addc_co_u32_e32 v1, vcc, 0, v15, vcc
	global_store_dwordx4 v[0:1], v[38:41], off offset:1536
	v_add_co_u32_e32 v0, vcc, 0x7000, v14
	v_add_f64 v[42:43], v[62:63], -v[114:115]
	s_nop 0
	v_addc_co_u32_e32 v1, vcc, 0, v15, vcc
	global_store_dwordx4 v[34:35], v[46:49], off offset:3200
	global_store_dwordx4 v[36:37], v[42:45], off offset:2368
	;; [unrolled: 1-line block ×3, first 2 shown]
	s_and_b64 exec, exec, s[0:1]
	s_cbranch_execz .LBB0_22
; %bb.21:
	v_subrev_u32_e32 v0, 34, v90
	v_cndmask_b32_e64 v0, v0, v224, s[0:1]
	v_mul_i32_i24_e32 v90, 9, v0
	v_lshl_add_u64 v[0:1], v[90:91], 4, s[4:5]
	global_load_dwordx4 v[38:41], v[0:1], off offset:2992
	global_load_dwordx4 v[42:45], v[0:1], off offset:3008
	;; [unrolled: 1-line block ×9, first 2 shown]
	s_waitcnt vmcnt(8)
	v_mul_f64 v[28:29], v[12:13], v[40:41]
	s_waitcnt vmcnt(7)
	v_mul_f64 v[2:3], v[100:101], v[44:45]
	v_mul_f64 v[4:5], v[198:199], v[44:45]
	s_waitcnt vmcnt(5)
	v_mul_f64 v[44:45], v[186:187], v[52:53]
	v_fmac_f64_e32 v[2:3], v[198:199], v[42:43]
	s_waitcnt vmcnt(3)
	v_mul_f64 v[62:63], v[6:7], v[60:61]
	v_mul_f64 v[0:1], v[8:9], v[40:41]
	s_waitcnt vmcnt(1)
	v_mul_f64 v[86:87], v[22:23], v[80:81]
	v_mul_f64 v[80:81], v[18:19], v[80:81]
	;; [unrolled: 1-line block ×8, first 2 shown]
	v_fmac_f64_e32 v[44:45], v[194:195], v[50:51]
	v_fmac_f64_e32 v[62:63], v[192:193], v[58:59]
	;; [unrolled: 1-line block ×3, first 2 shown]
	v_fma_f64 v[18:19], v[22:23], v[78:79], -v[80:81]
	v_add_f64 v[22:23], v[64:65], v[2:3]
	s_waitcnt vmcnt(0)
	v_mul_f64 v[88:89], v[72:73], v[84:85]
	v_fmac_f64_e32 v[28:29], v[8:9], v[38:39]
	v_fma_f64 v[8:9], v[12:13], v[38:39], -v[0:1]
	v_fma_f64 v[0:1], v[100:101], v[42:43], -v[4:5]
	;; [unrolled: 1-line block ×4, first 2 shown]
	v_fmac_f64_e32 v[52:53], v[254:255], v[54:55]
	v_fma_f64 v[38:39], v[184:185], v[54:55], -v[56:57]
	v_fma_f64 v[6:7], v[6:7], v[58:59], -v[60:61]
	v_add_f64 v[40:41], v[44:45], v[62:63]
	v_add_f64 v[54:55], v[2:3], v[86:87]
	;; [unrolled: 1-line block ×3, first 2 shown]
	v_mul_f64 v[84:85], v[68:69], v[84:85]
	v_fmac_f64_e32 v[30:31], v[196:197], v[46:47]
	v_fmac_f64_e32 v[88:89], v[68:69], v[82:83]
	v_add_f64 v[46:47], v[12:13], -v[6:7]
	v_add_f64 v[48:49], v[2:3], -v[44:45]
	;; [unrolled: 1-line block ×4, first 2 shown]
	v_add_f64 v[60:61], v[10:11], v[0:1]
	v_add_f64 v[68:69], v[12:13], v[6:7]
	v_add_f64 v[70:71], v[44:45], -v[62:63]
	v_fma_f64 v[44:45], -0.5, v[40:41], v[64:65]
	v_fmac_f64_e32 v[64:65], -0.5, v[54:55]
	v_add_f64 v[22:23], v[22:23], v[62:63]
	v_add_f64 v[42:43], v[0:1], -v[18:19]
	v_add_f64 v[58:59], v[62:63], -v[86:87]
	v_add_f64 v[40:41], v[48:49], v[50:51]
	v_add_f64 v[50:51], v[60:61], v[12:13]
	v_fma_f64 v[54:55], -0.5, v[68:69], v[10:11]
	v_fma_f64 v[60:61], s[12:13], v[46:47], v[64:65]
	v_fmac_f64_e32 v[64:65], s[8:9], v[46:47]
	v_add_f64 v[68:69], v[22:23], v[86:87]
	v_add_f64 v[22:23], v[0:1], v[18:19]
	v_mul_f64 v[66:67], v[20:21], v[76:77]
	v_mul_f64 v[76:77], v[16:17], v[76:77]
	v_add_f64 v[48:49], v[56:57], v[58:59]
	v_fmac_f64_e32 v[60:61], s[6:7], v[42:43]
	v_fmac_f64_e32 v[64:65], s[10:11], v[42:43]
	v_fmac_f64_e32 v[10:11], -0.5, v[22:23]
	v_fmac_f64_e32 v[66:67], v[16:17], v[74:75]
	v_fma_f64 v[16:17], v[20:21], v[74:75], -v[76:77]
	v_fma_f64 v[20:21], v[72:73], v[82:83], -v[84:85]
	v_add_f64 v[2:3], v[2:3], -v[86:87]
	v_add_f64 v[72:73], v[0:1], -v[12:13]
	;; [unrolled: 1-line block ×3, first 2 shown]
	v_add_f64 v[50:51], v[50:51], v[6:7]
	v_fmac_f64_e32 v[60:61], s[2:3], v[48:49]
	v_fmac_f64_e32 v[64:65], s[2:3], v[48:49]
	v_fma_f64 v[48:49], s[8:9], v[70:71], v[10:11]
	v_add_f64 v[0:1], v[12:13], -v[0:1]
	v_add_f64 v[6:7], v[6:7], -v[18:19]
	v_fmac_f64_e32 v[10:11], s[12:13], v[70:71]
	v_fmac_f64_e32 v[48:49], s[10:11], v[2:3]
	v_add_f64 v[0:1], v[0:1], v[6:7]
	v_fmac_f64_e32 v[10:11], s[6:7], v[2:3]
	v_fmac_f64_e32 v[48:49], s[2:3], v[0:1]
	;; [unrolled: 1-line block ×3, first 2 shown]
	v_add_f64 v[0:1], v[28:29], v[30:31]
	v_add_f64 v[0:1], v[0:1], v[52:53]
	v_fma_f64 v[58:59], s[8:9], v[42:43], v[44:45]
	v_fmac_f64_e32 v[44:45], s[12:13], v[42:43]
	v_add_f64 v[0:1], v[0:1], v[66:67]
	v_fmac_f64_e32 v[58:59], s[6:7], v[46:47]
	v_fmac_f64_e32 v[44:45], s[10:11], v[46:47]
	v_add_f64 v[12:13], v[0:1], v[88:89]
	v_add_f64 v[0:1], v[52:53], v[66:67]
	v_fmac_f64_e32 v[58:59], s[2:3], v[40:41]
	v_fmac_f64_e32 v[44:45], s[2:3], v[40:41]
	v_fma_f64 v[40:41], -0.5, v[0:1], v[28:29]
	v_add_f64 v[0:1], v[4:5], -v[20:21]
	v_add_f64 v[56:57], v[72:73], v[74:75]
	v_fma_f64 v[62:63], s[12:13], v[2:3], v[54:55]
	v_add_f64 v[72:73], v[50:51], v[18:19]
	v_fmac_f64_e32 v[54:55], s[8:9], v[2:3]
	v_fma_f64 v[6:7], s[8:9], v[0:1], v[40:41]
	v_add_f64 v[2:3], v[38:39], -v[16:17]
	v_add_f64 v[18:19], v[30:31], -v[52:53]
	;; [unrolled: 1-line block ×3, first 2 shown]
	v_fmac_f64_e32 v[40:41], s[12:13], v[0:1]
	v_fmac_f64_e32 v[6:7], s[6:7], v[2:3]
	v_add_f64 v[18:19], v[18:19], v[22:23]
	v_fmac_f64_e32 v[40:41], s[10:11], v[2:3]
	v_fmac_f64_e32 v[6:7], s[2:3], v[18:19]
	;; [unrolled: 1-line block ×3, first 2 shown]
	v_add_f64 v[18:19], v[30:31], v[88:89]
	v_fmac_f64_e32 v[28:29], -0.5, v[18:19]
	v_fma_f64 v[18:19], s[12:13], v[2:3], v[28:29]
	v_fmac_f64_e32 v[28:29], s[8:9], v[2:3]
	v_fmac_f64_e32 v[18:19], s[6:7], v[0:1]
	;; [unrolled: 1-line block ×3, first 2 shown]
	v_add_f64 v[0:1], v[8:9], v[4:5]
	v_add_f64 v[0:1], v[0:1], v[38:39]
	v_fmac_f64_e32 v[62:63], s[10:11], v[70:71]
	v_fmac_f64_e32 v[54:55], s[6:7], v[70:71]
	v_add_f64 v[0:1], v[0:1], v[16:17]
	v_fmac_f64_e32 v[62:63], s[2:3], v[56:57]
	v_fmac_f64_e32 v[54:55], s[2:3], v[56:57]
	v_add_f64 v[22:23], v[52:53], -v[30:31]
	v_add_f64 v[42:43], v[66:67], -v[88:89]
	v_add_f64 v[56:57], v[0:1], v[20:21]
	v_add_f64 v[0:1], v[38:39], v[16:17]
	;; [unrolled: 1-line block ×3, first 2 shown]
	v_fma_f64 v[42:43], -0.5, v[0:1], v[8:9]
	v_add_f64 v[0:1], v[30:31], -v[88:89]
	v_fmac_f64_e32 v[18:19], s[2:3], v[22:23]
	v_fmac_f64_e32 v[28:29], s[2:3], v[22:23]
	v_fma_f64 v[22:23], s[12:13], v[0:1], v[42:43]
	v_add_f64 v[2:3], v[52:53], -v[66:67]
	v_add_f64 v[30:31], v[4:5], -v[38:39]
	;; [unrolled: 1-line block ×3, first 2 shown]
	v_fmac_f64_e32 v[42:43], s[8:9], v[0:1]
	v_fmac_f64_e32 v[22:23], s[10:11], v[2:3]
	v_add_f64 v[30:31], v[30:31], v[46:47]
	v_fmac_f64_e32 v[42:43], s[6:7], v[2:3]
	v_fmac_f64_e32 v[22:23], s[2:3], v[30:31]
	;; [unrolled: 1-line block ×3, first 2 shown]
	v_add_f64 v[30:31], v[4:5], v[20:21]
	v_fmac_f64_e32 v[8:9], -0.5, v[30:31]
	v_fma_f64 v[30:31], s[8:9], v[2:3], v[8:9]
	v_add_f64 v[4:5], v[38:39], -v[4:5]
	v_add_f64 v[16:17], v[16:17], -v[20:21]
	v_fmac_f64_e32 v[8:9], s[12:13], v[2:3]
	v_fmac_f64_e32 v[30:31], s[10:11], v[0:1]
	v_add_f64 v[4:5], v[4:5], v[16:17]
	v_fmac_f64_e32 v[8:9], s[6:7], v[0:1]
	v_fmac_f64_e32 v[30:31], s[2:3], v[4:5]
	;; [unrolled: 1-line block ×3, first 2 shown]
	v_mul_f64 v[46:47], v[22:23], s[6:7]
	v_mul_f64 v[50:51], v[30:31], s[8:9]
	;; [unrolled: 1-line block ×8, first 2 shown]
	v_add_f64 v[0:1], v[68:69], v[12:13]
	v_fmac_f64_e32 v[46:47], s[18:19], v[6:7]
	v_fmac_f64_e32 v[50:51], s[2:3], v[18:19]
	;; [unrolled: 1-line block ×4, first 2 shown]
	v_add_f64 v[2:3], v[72:73], v[56:57]
	v_fmac_f64_e32 v[70:71], s[10:11], v[6:7]
	v_fmac_f64_e32 v[74:75], s[12:13], v[18:19]
	;; [unrolled: 1-line block ×4, first 2 shown]
	v_add_f64 v[4:5], v[58:59], v[46:47]
	v_add_f64 v[16:17], v[60:61], v[50:51]
	v_add_f64 v[20:21], v[64:65], v[52:53]
	v_add_f64 v[38:39], v[44:45], v[66:67]
	v_add_f64 v[6:7], v[62:63], v[70:71]
	v_add_f64 v[18:19], v[48:49], v[74:75]
	v_add_f64 v[22:23], v[10:11], v[76:77]
	v_add_f64 v[40:41], v[54:55], v[78:79]
	v_add_f64 v[28:29], v[68:69], -v[12:13]
	v_add_f64 v[42:43], v[58:59], -v[46:47]
	;; [unrolled: 1-line block ×6, first 2 shown]
	global_store_dwordx4 v[14:15], v[0:3], off offset:2720
	global_store_dwordx4 v[24:25], v[4:7], off offset:1888
	;; [unrolled: 1-line block ×7, first 2 shown]
	v_add_co_u32_e32 v0, vcc, 0x6000, v14
	v_add_f64 v[48:49], v[48:49], -v[74:75]
	s_nop 0
	v_addc_co_u32_e32 v1, vcc, 0, v15, vcc
	global_store_dwordx4 v[0:1], v[46:49], off offset:992
	v_add_co_u32_e32 v0, vcc, 0x7000, v14
	v_add_f64 v[8:9], v[64:65], -v[52:53]
	v_add_f64 v[10:11], v[10:11], -v[76:77]
	v_addc_co_u32_e32 v1, vcc, 0, v15, vcc
	v_add_f64 v[52:53], v[54:55], -v[78:79]
	global_store_dwordx4 v[0:1], v[8:11], off offset:160
	global_store_dwordx4 v[0:1], v[50:53], off offset:3424
.LBB0_22:
	s_endpgm
	.section	.rodata,"a",@progbits
	.p2align	6, 0x0
	.amdhsa_kernel fft_rtc_back_len2040_factors_17_4_3_10_wgs_170_tpt_170_halfLds_dp_ip_CI_unitstride_sbrr_dirReg
		.amdhsa_group_segment_fixed_size 0
		.amdhsa_private_segment_fixed_size 0
		.amdhsa_kernarg_size 88
		.amdhsa_user_sgpr_count 2
		.amdhsa_user_sgpr_dispatch_ptr 0
		.amdhsa_user_sgpr_queue_ptr 0
		.amdhsa_user_sgpr_kernarg_segment_ptr 1
		.amdhsa_user_sgpr_dispatch_id 0
		.amdhsa_user_sgpr_kernarg_preload_length 0
		.amdhsa_user_sgpr_kernarg_preload_offset 0
		.amdhsa_user_sgpr_private_segment_size 0
		.amdhsa_uses_dynamic_stack 0
		.amdhsa_enable_private_segment 0
		.amdhsa_system_sgpr_workgroup_id_x 1
		.amdhsa_system_sgpr_workgroup_id_y 0
		.amdhsa_system_sgpr_workgroup_id_z 0
		.amdhsa_system_sgpr_workgroup_info 0
		.amdhsa_system_vgpr_workitem_id 0
		.amdhsa_next_free_vgpr 272
		.amdhsa_next_free_sgpr 56
		.amdhsa_accum_offset 256
		.amdhsa_reserve_vcc 1
		.amdhsa_float_round_mode_32 0
		.amdhsa_float_round_mode_16_64 0
		.amdhsa_float_denorm_mode_32 3
		.amdhsa_float_denorm_mode_16_64 3
		.amdhsa_dx10_clamp 1
		.amdhsa_ieee_mode 1
		.amdhsa_fp16_overflow 0
		.amdhsa_tg_split 0
		.amdhsa_exception_fp_ieee_invalid_op 0
		.amdhsa_exception_fp_denorm_src 0
		.amdhsa_exception_fp_ieee_div_zero 0
		.amdhsa_exception_fp_ieee_overflow 0
		.amdhsa_exception_fp_ieee_underflow 0
		.amdhsa_exception_fp_ieee_inexact 0
		.amdhsa_exception_int_div_zero 0
	.end_amdhsa_kernel
	.text
.Lfunc_end0:
	.size	fft_rtc_back_len2040_factors_17_4_3_10_wgs_170_tpt_170_halfLds_dp_ip_CI_unitstride_sbrr_dirReg, .Lfunc_end0-fft_rtc_back_len2040_factors_17_4_3_10_wgs_170_tpt_170_halfLds_dp_ip_CI_unitstride_sbrr_dirReg
                                        ; -- End function
	.section	.AMDGPU.csdata,"",@progbits
; Kernel info:
; codeLenInByte = 14756
; NumSgprs: 62
; NumVgprs: 256
; NumAgprs: 16
; TotalNumVgprs: 272
; ScratchSize: 0
; MemoryBound: 1
; FloatMode: 240
; IeeeMode: 1
; LDSByteSize: 0 bytes/workgroup (compile time only)
; SGPRBlocks: 7
; VGPRBlocks: 33
; NumSGPRsForWavesPerEU: 62
; NumVGPRsForWavesPerEU: 272
; AccumOffset: 256
; Occupancy: 1
; WaveLimiterHint : 1
; COMPUTE_PGM_RSRC2:SCRATCH_EN: 0
; COMPUTE_PGM_RSRC2:USER_SGPR: 2
; COMPUTE_PGM_RSRC2:TRAP_HANDLER: 0
; COMPUTE_PGM_RSRC2:TGID_X_EN: 1
; COMPUTE_PGM_RSRC2:TGID_Y_EN: 0
; COMPUTE_PGM_RSRC2:TGID_Z_EN: 0
; COMPUTE_PGM_RSRC2:TIDIG_COMP_CNT: 0
; COMPUTE_PGM_RSRC3_GFX90A:ACCUM_OFFSET: 63
; COMPUTE_PGM_RSRC3_GFX90A:TG_SPLIT: 0
	.text
	.p2alignl 6, 3212836864
	.fill 256, 4, 3212836864
	.type	__hip_cuid_e0c496b4fa7bbc31,@object ; @__hip_cuid_e0c496b4fa7bbc31
	.section	.bss,"aw",@nobits
	.globl	__hip_cuid_e0c496b4fa7bbc31
__hip_cuid_e0c496b4fa7bbc31:
	.byte	0                               ; 0x0
	.size	__hip_cuid_e0c496b4fa7bbc31, 1

	.ident	"AMD clang version 19.0.0git (https://github.com/RadeonOpenCompute/llvm-project roc-6.4.0 25133 c7fe45cf4b819c5991fe208aaa96edf142730f1d)"
	.section	".note.GNU-stack","",@progbits
	.addrsig
	.addrsig_sym __hip_cuid_e0c496b4fa7bbc31
	.amdgpu_metadata
---
amdhsa.kernels:
  - .agpr_count:     16
    .args:
      - .actual_access:  read_only
        .address_space:  global
        .offset:         0
        .size:           8
        .value_kind:     global_buffer
      - .offset:         8
        .size:           8
        .value_kind:     by_value
      - .actual_access:  read_only
        .address_space:  global
        .offset:         16
        .size:           8
        .value_kind:     global_buffer
      - .actual_access:  read_only
        .address_space:  global
        .offset:         24
        .size:           8
        .value_kind:     global_buffer
      - .offset:         32
        .size:           8
        .value_kind:     by_value
      - .actual_access:  read_only
        .address_space:  global
        .offset:         40
        .size:           8
        .value_kind:     global_buffer
      - .actual_access:  read_only
        .address_space:  global
        .offset:         48
        .size:           8
        .value_kind:     global_buffer
      - .offset:         56
        .size:           4
        .value_kind:     by_value
      - .actual_access:  read_only
        .address_space:  global
        .offset:         64
        .size:           8
        .value_kind:     global_buffer
      - .actual_access:  read_only
        .address_space:  global
        .offset:         72
        .size:           8
        .value_kind:     global_buffer
      - .address_space:  global
        .offset:         80
        .size:           8
        .value_kind:     global_buffer
    .group_segment_fixed_size: 0
    .kernarg_segment_align: 8
    .kernarg_segment_size: 88
    .language:       OpenCL C
    .language_version:
      - 2
      - 0
    .max_flat_workgroup_size: 170
    .name:           fft_rtc_back_len2040_factors_17_4_3_10_wgs_170_tpt_170_halfLds_dp_ip_CI_unitstride_sbrr_dirReg
    .private_segment_fixed_size: 0
    .sgpr_count:     62
    .sgpr_spill_count: 0
    .symbol:         fft_rtc_back_len2040_factors_17_4_3_10_wgs_170_tpt_170_halfLds_dp_ip_CI_unitstride_sbrr_dirReg.kd
    .uniform_work_group_size: 1
    .uses_dynamic_stack: false
    .vgpr_count:     272
    .vgpr_spill_count: 0
    .wavefront_size: 64
amdhsa.target:   amdgcn-amd-amdhsa--gfx950
amdhsa.version:
  - 1
  - 2
...

	.end_amdgpu_metadata
